;; amdgpu-corpus repo=ROCm/rocFFT kind=compiled arch=gfx906 opt=O3
	.text
	.amdgcn_target "amdgcn-amd-amdhsa--gfx906"
	.amdhsa_code_object_version 6
	.protected	fft_rtc_back_len3000_factors_10_3_10_10_wgs_100_tpt_100_halfLds_half_ip_CI_unitstride_sbrr_R2C_dirReg ; -- Begin function fft_rtc_back_len3000_factors_10_3_10_10_wgs_100_tpt_100_halfLds_half_ip_CI_unitstride_sbrr_R2C_dirReg
	.globl	fft_rtc_back_len3000_factors_10_3_10_10_wgs_100_tpt_100_halfLds_half_ip_CI_unitstride_sbrr_R2C_dirReg
	.p2align	8
	.type	fft_rtc_back_len3000_factors_10_3_10_10_wgs_100_tpt_100_halfLds_half_ip_CI_unitstride_sbrr_R2C_dirReg,@function
fft_rtc_back_len3000_factors_10_3_10_10_wgs_100_tpt_100_halfLds_half_ip_CI_unitstride_sbrr_R2C_dirReg: ; @fft_rtc_back_len3000_factors_10_3_10_10_wgs_100_tpt_100_halfLds_half_ip_CI_unitstride_sbrr_R2C_dirReg
; %bb.0:
	s_load_dwordx2 s[2:3], s[4:5], 0x50
	s_load_dwordx4 s[8:11], s[4:5], 0x0
	s_load_dwordx2 s[12:13], s[4:5], 0x18
	v_mul_u32_u24_e32 v1, 0x290, v0
	v_add_u32_sdwa v5, s6, v1 dst_sel:DWORD dst_unused:UNUSED_PAD src0_sel:DWORD src1_sel:WORD_1
	v_mov_b32_e32 v3, 0
	s_waitcnt lgkmcnt(0)
	v_cmp_lt_u64_e64 s[0:1], s[10:11], 2
	v_mov_b32_e32 v1, 0
	v_mov_b32_e32 v6, v3
	s_and_b64 vcc, exec, s[0:1]
	v_mov_b32_e32 v2, 0
	s_cbranch_vccnz .LBB0_8
; %bb.1:
	s_load_dwordx2 s[0:1], s[4:5], 0x10
	s_add_u32 s6, s12, 8
	s_addc_u32 s7, s13, 0
	v_mov_b32_e32 v1, 0
	v_mov_b32_e32 v2, 0
	s_waitcnt lgkmcnt(0)
	s_add_u32 s14, s0, 8
	s_addc_u32 s15, s1, 0
	s_mov_b64 s[16:17], 1
.LBB0_2:                                ; =>This Inner Loop Header: Depth=1
	s_load_dwordx2 s[18:19], s[14:15], 0x0
                                        ; implicit-def: $vgpr7_vgpr8
	s_waitcnt lgkmcnt(0)
	v_or_b32_e32 v4, s19, v6
	v_cmp_ne_u64_e32 vcc, 0, v[3:4]
	s_and_saveexec_b64 s[0:1], vcc
	s_xor_b64 s[20:21], exec, s[0:1]
	s_cbranch_execz .LBB0_4
; %bb.3:                                ;   in Loop: Header=BB0_2 Depth=1
	v_cvt_f32_u32_e32 v4, s18
	v_cvt_f32_u32_e32 v7, s19
	s_sub_u32 s0, 0, s18
	s_subb_u32 s1, 0, s19
	v_mac_f32_e32 v4, 0x4f800000, v7
	v_rcp_f32_e32 v4, v4
	v_mul_f32_e32 v4, 0x5f7ffffc, v4
	v_mul_f32_e32 v7, 0x2f800000, v4
	v_trunc_f32_e32 v7, v7
	v_mac_f32_e32 v4, 0xcf800000, v7
	v_cvt_u32_f32_e32 v7, v7
	v_cvt_u32_f32_e32 v4, v4
	v_mul_lo_u32 v8, s0, v7
	v_mul_hi_u32 v9, s0, v4
	v_mul_lo_u32 v11, s1, v4
	v_mul_lo_u32 v10, s0, v4
	v_add_u32_e32 v8, v9, v8
	v_add_u32_e32 v8, v8, v11
	v_mul_hi_u32 v9, v4, v10
	v_mul_lo_u32 v11, v4, v8
	v_mul_hi_u32 v13, v4, v8
	v_mul_hi_u32 v12, v7, v10
	v_mul_lo_u32 v10, v7, v10
	v_mul_hi_u32 v14, v7, v8
	v_add_co_u32_e32 v9, vcc, v9, v11
	v_addc_co_u32_e32 v11, vcc, 0, v13, vcc
	v_mul_lo_u32 v8, v7, v8
	v_add_co_u32_e32 v9, vcc, v9, v10
	v_addc_co_u32_e32 v9, vcc, v11, v12, vcc
	v_addc_co_u32_e32 v10, vcc, 0, v14, vcc
	v_add_co_u32_e32 v8, vcc, v9, v8
	v_addc_co_u32_e32 v9, vcc, 0, v10, vcc
	v_add_co_u32_e32 v4, vcc, v4, v8
	v_addc_co_u32_e32 v7, vcc, v7, v9, vcc
	v_mul_lo_u32 v8, s0, v7
	v_mul_hi_u32 v9, s0, v4
	v_mul_lo_u32 v10, s1, v4
	v_mul_lo_u32 v11, s0, v4
	v_add_u32_e32 v8, v9, v8
	v_add_u32_e32 v8, v8, v10
	v_mul_lo_u32 v12, v4, v8
	v_mul_hi_u32 v13, v4, v11
	v_mul_hi_u32 v14, v4, v8
	;; [unrolled: 1-line block ×3, first 2 shown]
	v_mul_lo_u32 v11, v7, v11
	v_mul_hi_u32 v9, v7, v8
	v_add_co_u32_e32 v12, vcc, v13, v12
	v_addc_co_u32_e32 v13, vcc, 0, v14, vcc
	v_mul_lo_u32 v8, v7, v8
	v_add_co_u32_e32 v11, vcc, v12, v11
	v_addc_co_u32_e32 v10, vcc, v13, v10, vcc
	v_addc_co_u32_e32 v9, vcc, 0, v9, vcc
	v_add_co_u32_e32 v8, vcc, v10, v8
	v_addc_co_u32_e32 v9, vcc, 0, v9, vcc
	v_add_co_u32_e32 v4, vcc, v4, v8
	v_addc_co_u32_e32 v9, vcc, v7, v9, vcc
	v_mad_u64_u32 v[7:8], s[0:1], v5, v9, 0
	v_mul_hi_u32 v10, v5, v4
	v_add_co_u32_e32 v11, vcc, v10, v7
	v_addc_co_u32_e32 v12, vcc, 0, v8, vcc
	v_mad_u64_u32 v[7:8], s[0:1], v6, v4, 0
	v_mad_u64_u32 v[9:10], s[0:1], v6, v9, 0
	v_add_co_u32_e32 v4, vcc, v11, v7
	v_addc_co_u32_e32 v4, vcc, v12, v8, vcc
	v_addc_co_u32_e32 v7, vcc, 0, v10, vcc
	v_add_co_u32_e32 v4, vcc, v4, v9
	v_addc_co_u32_e32 v9, vcc, 0, v7, vcc
	v_mul_lo_u32 v10, s19, v4
	v_mul_lo_u32 v11, s18, v9
	v_mad_u64_u32 v[7:8], s[0:1], s18, v4, 0
	v_add3_u32 v8, v8, v11, v10
	v_sub_u32_e32 v10, v6, v8
	v_mov_b32_e32 v11, s19
	v_sub_co_u32_e32 v7, vcc, v5, v7
	v_subb_co_u32_e64 v10, s[0:1], v10, v11, vcc
	v_subrev_co_u32_e64 v11, s[0:1], s18, v7
	v_subbrev_co_u32_e64 v10, s[0:1], 0, v10, s[0:1]
	v_cmp_le_u32_e64 s[0:1], s19, v10
	v_cndmask_b32_e64 v12, 0, -1, s[0:1]
	v_cmp_le_u32_e64 s[0:1], s18, v11
	v_cndmask_b32_e64 v11, 0, -1, s[0:1]
	v_cmp_eq_u32_e64 s[0:1], s19, v10
	v_cndmask_b32_e64 v10, v12, v11, s[0:1]
	v_add_co_u32_e64 v11, s[0:1], 2, v4
	v_addc_co_u32_e64 v12, s[0:1], 0, v9, s[0:1]
	v_add_co_u32_e64 v13, s[0:1], 1, v4
	v_addc_co_u32_e64 v14, s[0:1], 0, v9, s[0:1]
	v_subb_co_u32_e32 v8, vcc, v6, v8, vcc
	v_cmp_ne_u32_e64 s[0:1], 0, v10
	v_cmp_le_u32_e32 vcc, s19, v8
	v_cndmask_b32_e64 v10, v14, v12, s[0:1]
	v_cndmask_b32_e64 v12, 0, -1, vcc
	v_cmp_le_u32_e32 vcc, s18, v7
	v_cndmask_b32_e64 v7, 0, -1, vcc
	v_cmp_eq_u32_e32 vcc, s19, v8
	v_cndmask_b32_e32 v7, v12, v7, vcc
	v_cmp_ne_u32_e32 vcc, 0, v7
	v_cndmask_b32_e64 v7, v13, v11, s[0:1]
	v_cndmask_b32_e32 v8, v9, v10, vcc
	v_cndmask_b32_e32 v7, v4, v7, vcc
.LBB0_4:                                ;   in Loop: Header=BB0_2 Depth=1
	s_andn2_saveexec_b64 s[0:1], s[20:21]
	s_cbranch_execz .LBB0_6
; %bb.5:                                ;   in Loop: Header=BB0_2 Depth=1
	v_cvt_f32_u32_e32 v4, s18
	s_sub_i32 s20, 0, s18
	v_rcp_iflag_f32_e32 v4, v4
	v_mul_f32_e32 v4, 0x4f7ffffe, v4
	v_cvt_u32_f32_e32 v4, v4
	v_mul_lo_u32 v7, s20, v4
	v_mul_hi_u32 v7, v4, v7
	v_add_u32_e32 v4, v4, v7
	v_mul_hi_u32 v4, v5, v4
	v_mul_lo_u32 v7, v4, s18
	v_add_u32_e32 v8, 1, v4
	v_sub_u32_e32 v7, v5, v7
	v_subrev_u32_e32 v9, s18, v7
	v_cmp_le_u32_e32 vcc, s18, v7
	v_cndmask_b32_e32 v7, v7, v9, vcc
	v_cndmask_b32_e32 v4, v4, v8, vcc
	v_add_u32_e32 v8, 1, v4
	v_cmp_le_u32_e32 vcc, s18, v7
	v_cndmask_b32_e32 v7, v4, v8, vcc
	v_mov_b32_e32 v8, v3
.LBB0_6:                                ;   in Loop: Header=BB0_2 Depth=1
	s_or_b64 exec, exec, s[0:1]
	v_mul_lo_u32 v4, v8, s18
	v_mul_lo_u32 v11, v7, s19
	v_mad_u64_u32 v[9:10], s[0:1], v7, s18, 0
	s_load_dwordx2 s[0:1], s[6:7], 0x0
	s_add_u32 s16, s16, 1
	v_add3_u32 v4, v10, v11, v4
	v_sub_co_u32_e32 v5, vcc, v5, v9
	v_subb_co_u32_e32 v4, vcc, v6, v4, vcc
	s_waitcnt lgkmcnt(0)
	v_mul_lo_u32 v4, s0, v4
	v_mul_lo_u32 v6, s1, v5
	v_mad_u64_u32 v[1:2], s[0:1], s0, v5, v[1:2]
	s_addc_u32 s17, s17, 0
	s_add_u32 s6, s6, 8
	v_add3_u32 v2, v6, v2, v4
	v_mov_b32_e32 v4, s10
	v_mov_b32_e32 v5, s11
	s_addc_u32 s7, s7, 0
	v_cmp_ge_u64_e32 vcc, s[16:17], v[4:5]
	s_add_u32 s14, s14, 8
	s_addc_u32 s15, s15, 0
	s_cbranch_vccnz .LBB0_9
; %bb.7:                                ;   in Loop: Header=BB0_2 Depth=1
	v_mov_b32_e32 v5, v7
	v_mov_b32_e32 v6, v8
	s_branch .LBB0_2
.LBB0_8:
	v_mov_b32_e32 v8, v6
	v_mov_b32_e32 v7, v5
.LBB0_9:
	s_lshl_b64 s[0:1], s[10:11], 3
	s_add_u32 s0, s12, s0
	s_addc_u32 s1, s13, s1
	s_load_dwordx2 s[6:7], s[0:1], 0x0
	s_load_dwordx2 s[10:11], s[4:5], 0x20
                                        ; implicit-def: $vgpr20
                                        ; implicit-def: $vgpr33
                                        ; implicit-def: $vgpr24
                                        ; implicit-def: $vgpr26
                                        ; implicit-def: $vgpr28
                                        ; implicit-def: $vgpr30
                                        ; implicit-def: $vgpr32
                                        ; implicit-def: $vgpr23
                                        ; implicit-def: $vgpr22
	s_waitcnt lgkmcnt(0)
	v_mad_u64_u32 v[1:2], s[0:1], s6, v7, v[1:2]
	s_mov_b32 s0, 0x28f5c29
	v_mul_lo_u32 v3, s6, v8
	v_mul_lo_u32 v4, s7, v7
	v_mul_hi_u32 v5, v0, s0
	v_cmp_gt_u64_e32 vcc, s[10:11], v[7:8]
	v_cmp_le_u64_e64 s[0:1], s[10:11], v[7:8]
	v_add3_u32 v2, v4, v2, v3
	v_mul_u32_u24_e32 v3, 0x64, v5
	v_sub_u32_e32 v16, v0, v3
	s_and_saveexec_b64 s[4:5], s[0:1]
	s_xor_b64 s[0:1], exec, s[4:5]
; %bb.10:
	v_add_u32_e32 v20, 0x64, v16
	v_add_u32_e32 v33, 0xc8, v16
	;; [unrolled: 1-line block ×9, first 2 shown]
; %bb.11:
	s_or_saveexec_b64 s[4:5], s[0:1]
	v_lshlrev_b64 v[18:19], 2, v[1:2]
	s_xor_b64 exec, exec, s[4:5]
	s_cbranch_execz .LBB0_13
; %bb.12:
	v_mov_b32_e32 v17, 0
	v_mov_b32_e32 v0, s3
	v_add_co_u32_e64 v2, s[0:1], s2, v18
	v_addc_co_u32_e64 v3, s[0:1], v0, v19, s[0:1]
	v_lshlrev_b64 v[0:1], 2, v[16:17]
	s_movk_i32 s6, 0x2000
	v_add_co_u32_e64 v0, s[0:1], v2, v0
	v_addc_co_u32_e64 v1, s[0:1], v3, v1, s[0:1]
	s_movk_i32 s0, 0x1000
	v_add_co_u32_e64 v2, s[0:1], s0, v0
	v_addc_co_u32_e64 v3, s[0:1], 0, v1, s[0:1]
	global_load_dword v4, v[0:1], off
	global_load_dword v5, v[0:1], off offset:1200
	global_load_dword v6, v[0:1], off offset:1600
	;; [unrolled: 1-line block ×15, first 2 shown]
	v_add_co_u32_e64 v0, s[0:1], s6, v0
	v_addc_co_u32_e64 v1, s[0:1], 0, v1, s[0:1]
	global_load_dword v29, v[2:3], off offset:2304
	global_load_dword v31, v[2:3], off offset:2704
	;; [unrolled: 1-line block ×14, first 2 shown]
	v_lshl_add_u32 v0, v16, 2, 0
	v_add_u32_e32 v1, 0x200, v0
	v_add_u32_e32 v20, 0x64, v16
	;; [unrolled: 1-line block ×21, first 2 shown]
	s_waitcnt vmcnt(23)
	ds_write2_b32 v1, v10, v5 offset0:72 offset1:172
	ds_write2_b32 v2, v6, v7 offset0:144 offset1:244
	s_waitcnt vmcnt(22)
	ds_write2_b32 v0, v4, v11 offset1:100
	ds_write2_b32 v3, v8, v9 offset0:88 offset1:188
	s_waitcnt vmcnt(20)
	ds_write2_b32 v46, v12, v13 offset0:32 offset1:132
	s_waitcnt vmcnt(18)
	;; [unrolled: 2-line block ×9, first 2 shown]
	ds_write2_b32 v54, v40, v41 offset0:96 offset1:196
	v_add_u32_e32 v1, 0x2800, v0
	v_add_u32_e32 v0, 0x2a00, v0
	s_waitcnt vmcnt(2)
	ds_write2_b32 v1, v42, v43 offset0:40 offset1:140
	s_waitcnt vmcnt(0)
	ds_write2_b32 v0, v44, v45 offset0:112 offset1:212
.LBB0_13:
	s_or_b64 exec, exec, s[4:5]
	v_lshlrev_b32_e32 v17, 2, v16
	v_add_u32_e32 v40, 0, v17
	v_add_u32_e32 v0, 0x800, v40
	;; [unrolled: 1-line block ×4, first 2 shown]
	s_waitcnt lgkmcnt(0)
	s_barrier
	ds_read2_b32 v[0:1], v0 offset0:88 offset1:188
	v_add_u32_e32 v31, 0x1200, v40
	ds_read2_b32 v[2:3], v29 offset0:8 offset1:108
	ds_read2_b32 v[4:5], v21 offset0:96 offset1:196
	;; [unrolled: 1-line block ×3, first 2 shown]
	v_add_u32_e32 v43, 0x1e00, v40
	v_add_u32_e32 v44, 0x1400, v40
	;; [unrolled: 1-line block ×3, first 2 shown]
	s_waitcnt lgkmcnt(1)
	v_sub_f16_e32 v8, v4, v2
	s_waitcnt lgkmcnt(0)
	v_sub_f16_e32 v9, v0, v6
	v_add_f16_e32 v25, v9, v8
	v_add_u32_e32 v8, 0xc00, v40
	ds_read2_b32 v[8:9], v8 offset0:32 offset1:132
	ds_read2_b32 v[10:11], v43 offset0:80 offset1:180
	;; [unrolled: 1-line block ×4, first 2 shown]
	v_sub_f16_sdwa v27, v0, v6 dst_sel:DWORD dst_unused:UNUSED_PAD src0_sel:WORD_1 src1_sel:WORD_1
	v_sub_f16_sdwa v34, v4, v2 dst_sel:DWORD dst_unused:UNUSED_PAD src0_sel:WORD_1 src1_sel:WORD_1
	v_add_f16_e32 v27, v27, v34
	s_waitcnt lgkmcnt(1)
	v_sub_f16_e32 v34, v13, v11
	s_waitcnt lgkmcnt(0)
	v_sub_f16_e32 v35, v9, v15
	v_add_f16_e32 v42, v35, v34
	v_sub_f16_sdwa v34, v9, v15 dst_sel:DWORD dst_unused:UNUSED_PAD src0_sel:WORD_1 src1_sel:WORD_1
	v_sub_f16_sdwa v35, v13, v11 dst_sel:DWORD dst_unused:UNUSED_PAD src0_sel:WORD_1 src1_sel:WORD_1
	v_add_f16_e32 v58, v34, v35
	v_add_u32_e32 v34, 0x200, v40
	ds_read2_b32 v[34:35], v34 offset0:72 offset1:172
	v_add_f16_e32 v36, v15, v11
	s_mov_b32 s10, 0xbb9c
	v_sub_f16_sdwa v60, v9, v13 dst_sel:DWORD dst_unused:UNUSED_PAD src0_sel:WORD_1 src1_sel:WORD_1
	s_mov_b32 s7, 0xb8b4
	s_waitcnt lgkmcnt(0)
	v_fma_f16 v59, v36, -0.5, v35
	v_fma_f16 v36, v60, s10, v59
	v_sub_f16_sdwa v61, v15, v11 dst_sel:DWORD dst_unused:UNUSED_PAD src0_sel:WORD_1 src1_sel:WORD_1
	s_movk_i32 s5, 0x34f2
	v_fma_f16 v36, v61, s7, v36
	v_fma_f16 v38, v42, s5, v36
	v_add_f16_sdwa v36, v15, v11 dst_sel:DWORD dst_unused:UNUSED_PAD src0_sel:WORD_1 src1_sel:WORD_1
	v_lshrrev_b32_e32 v62, 16, v35
	s_movk_i32 s6, 0x3b9c
	v_fma_f16 v63, v36, -0.5, v62
	v_sub_f16_e32 v64, v9, v13
	s_movk_i32 s4, 0x38b4
	v_fma_f16 v36, v64, s6, v63
	v_sub_f16_e32 v65, v15, v11
	v_fma_f16 v36, v65, s4, v36
	v_fma_f16 v39, v58, s5, v36
	ds_read2_b32 v[36:37], v40 offset1:100
	s_movk_i32 s11, 0x3a79
	v_mul_f16_e32 v45, 0xb8b4, v39
	v_fma_f16 v66, v38, s11, v45
	v_mul_f16_e32 v38, 0x38b4, v38
	v_fma_f16 v67, v39, s11, v38
	v_add_f16_e32 v38, v6, v2
	s_waitcnt lgkmcnt(0)
	v_fma_f16 v68, v38, -0.5, v36
	v_sub_f16_sdwa v69, v0, v4 dst_sel:DWORD dst_unused:UNUSED_PAD src0_sel:WORD_1 src1_sel:WORD_1
	v_fma_f16 v38, v69, s10, v68
	v_sub_f16_sdwa v70, v6, v2 dst_sel:DWORD dst_unused:UNUSED_PAD src0_sel:WORD_1 src1_sel:WORD_1
	v_fma_f16 v38, v70, s7, v38
	v_fma_f16 v71, v25, s5, v38
	v_add_f16_sdwa v38, v6, v2 dst_sel:DWORD dst_unused:UNUSED_PAD src0_sel:WORD_1 src1_sel:WORD_1
	v_lshrrev_b32_e32 v72, 16, v36
	v_fma_f16 v73, v38, -0.5, v72
	v_sub_f16_e32 v74, v0, v4
	v_fma_f16 v38, v74, s6, v73
	v_sub_f16_e32 v75, v6, v2
	v_fma_f16 v38, v75, s4, v38
	v_fma_f16 v76, v27, s5, v38
	v_add_f16_e32 v38, v71, v66
	v_add_f16_e32 v39, v76, v67
	v_pack_b32_f16 v77, v38, v39
	v_mul_u32_u24_e32 v38, 10, v16
	v_lshl_add_u32 v78, v38, 2, 0
	v_pk_add_f16 v38, v36, v0
	v_pk_add_f16 v38, v38, v6
	;; [unrolled: 1-line block ×8, first 2 shown]
	v_add_u32_e32 v55, 0x400, v40
	v_pk_add_f16 v81, v79, v80
	v_add_u32_e32 v54, 0xe00, v40
	v_add_u32_e32 v53, 0x1800, v40
	;; [unrolled: 1-line block ×4, first 2 shown]
	ds_read2_b32 v[38:39], v55 offset0:144 offset1:244
	ds_read2_b32 v[45:46], v54 offset0:104 offset1:204
	;; [unrolled: 1-line block ×5, first 2 shown]
	s_waitcnt lgkmcnt(0)
	s_barrier
	ds_write2_b32 v78, v81, v77 offset1:1
	v_sub_f16_e32 v77, v2, v4
	v_sub_f16_e32 v81, v6, v0
	v_add_f16_e32 v77, v81, v77
	v_add_f16_e32 v81, v0, v4
	v_fma_f16 v36, v81, -0.5, v36
	v_fma_f16 v81, v70, s6, v36
	v_fma_f16 v36, v70, s10, v36
	;; [unrolled: 1-line block ×6, first 2 shown]
	v_add_f16_sdwa v77, v0, v4 dst_sel:DWORD dst_unused:UNUSED_PAD src0_sel:WORD_1 src1_sel:WORD_1
	v_fma_f16 v72, v77, -0.5, v72
	v_sub_f16_sdwa v0, v6, v0 dst_sel:DWORD dst_unused:UNUSED_PAD src0_sel:WORD_1 src1_sel:WORD_1
	v_sub_f16_sdwa v2, v2, v4 dst_sel:DWORD dst_unused:UNUSED_PAD src0_sel:WORD_1 src1_sel:WORD_1
	v_add_f16_e32 v0, v0, v2
	v_fma_f16 v2, v75, s10, v72
	v_fma_f16 v4, v75, s6, v72
	;; [unrolled: 1-line block ×6, first 2 shown]
	v_sub_f16_e32 v4, v11, v13
	v_sub_f16_e32 v6, v15, v9
	v_add_f16_e32 v4, v6, v4
	v_add_f16_e32 v6, v9, v13
	v_fma_f16 v6, v6, -0.5, v35
	v_fma_f16 v35, v61, s6, v6
	v_fma_f16 v6, v61, s10, v6
	v_fma_f16 v35, v60, s7, v35
	v_fma_f16 v6, v60, s4, v6
	v_fma_f16 v35, v4, s5, v35
	v_fma_f16 v4, v4, s5, v6
	v_add_f16_sdwa v6, v9, v13 dst_sel:DWORD dst_unused:UNUSED_PAD src0_sel:WORD_1 src1_sel:WORD_1
	v_fma_f16 v6, v6, -0.5, v62
	v_sub_f16_sdwa v9, v15, v9 dst_sel:DWORD dst_unused:UNUSED_PAD src0_sel:WORD_1 src1_sel:WORD_1
	v_sub_f16_sdwa v11, v11, v13 dst_sel:DWORD dst_unused:UNUSED_PAD src0_sel:WORD_1 src1_sel:WORD_1
	v_add_f16_e32 v9, v9, v11
	v_fma_f16 v11, v65, s10, v6
	v_fma_f16 v6, v65, s6, v6
	;; [unrolled: 1-line block ×6, first 2 shown]
	s_mov_b32 s12, 0xb4f2
	v_mul_f16_e32 v13, 0xbb9c, v6
	v_mul_f16_e32 v6, 0xb4f2, v6
	;; [unrolled: 1-line block ×4, first 2 shown]
	v_fma_f16 v13, v4, s12, v13
	v_fma_f16 v4, v4, s6, v6
	;; [unrolled: 1-line block ×4, first 2 shown]
	v_add_f16_e32 v6, v36, v13
	v_add_f16_e32 v15, v0, v4
	v_pack_b32_f16 v6, v6, v15
	v_add_f16_e32 v15, v81, v9
	v_add_f16_e32 v35, v2, v11
	v_pack_b32_f16 v15, v15, v35
	ds_write2_b32 v78, v15, v6 offset0:2 offset1:3
	v_fma_f16 v15, v74, s10, v73
	v_fma_f16 v6, v69, s6, v68
	;; [unrolled: 1-line block ×12, first 2 shown]
	s_mov_b32 s13, 0xba79
	v_mul_f16_e32 v35, 0xb8b4, v27
	v_mul_f16_e32 v27, 0xba79, v27
	v_fma_f16 v35, v25, s13, v35
	v_fma_f16 v25, v25, s4, v27
	v_add_f16_e32 v42, v6, v35
	v_add_f16_e32 v58, v15, v25
	v_pk_add_f16 v27, v79, v80 neg_lo:[0,1] neg_hi:[0,1]
	v_pack_b32_f16 v42, v42, v58
	ds_write2_b32 v78, v42, v27 offset0:4 offset1:5
	v_sub_f16_e32 v27, v71, v66
	v_sub_f16_e32 v9, v81, v9
	;; [unrolled: 1-line block ×4, first 2 shown]
	v_pack_b32_f16 v2, v9, v2
	v_pack_b32_f16 v9, v27, v42
	ds_write2_b32 v78, v9, v2 offset0:6 offset1:7
	v_sub_f16_e32 v2, v36, v13
	v_sub_f16_e32 v6, v6, v35
	;; [unrolled: 1-line block ×4, first 2 shown]
	v_pack_b32_f16 v4, v6, v4
	v_pack_b32_f16 v0, v2, v0
	ds_write2_b32 v78, v0, v4 offset0:8 offset1:9
	v_pk_add_f16 v0, v34, v8
	v_pk_add_f16 v0, v0, v14
	v_pk_add_f16 v0, v0, v10
	v_add_f16_e32 v2, v14, v10
	v_sub_f16_sdwa v4, v14, v10 dst_sel:DWORD dst_unused:UNUSED_PAD src0_sel:WORD_1 src1_sel:WORD_1
	v_sub_f16_e32 v6, v8, v14
	v_sub_f16_e32 v9, v14, v8
	v_add_f16_sdwa v11, v14, v10 dst_sel:DWORD dst_unused:UNUSED_PAD src0_sel:WORD_1 src1_sel:WORD_1
	v_sub_f16_e32 v13, v14, v10
	v_sub_f16_sdwa v15, v8, v14 dst_sel:DWORD dst_unused:UNUSED_PAD src0_sel:WORD_1 src1_sel:WORD_1
	v_sub_f16_sdwa v14, v14, v8 dst_sel:DWORD dst_unused:UNUSED_PAD src0_sel:WORD_1 src1_sel:WORD_1
	;; [unrolled: 1-line block ×3, first 2 shown]
	v_add_f16_e32 v27, v8, v12
	v_sub_f16_e32 v36, v8, v12
	v_add_f16_sdwa v8, v8, v12 dst_sel:DWORD dst_unused:UNUSED_PAD src0_sel:WORD_1 src1_sel:WORD_1
	v_sub_f16_e32 v42, v12, v10
	v_sub_f16_e32 v58, v10, v12
	v_sub_f16_sdwa v59, v12, v10 dst_sel:DWORD dst_unused:UNUSED_PAD src0_sel:WORD_1 src1_sel:WORD_1
	v_sub_f16_sdwa v10, v10, v12 dst_sel:DWORD dst_unused:UNUSED_PAD src0_sel:WORD_1 src1_sel:WORD_1
	v_pk_add_f16 v0, v0, v12
	v_pk_add_f16 v12, v37, v1
	;; [unrolled: 1-line block ×4, first 2 shown]
	v_add_f16_e32 v25, v7, v3
	v_sub_f16_sdwa v60, v7, v3 dst_sel:DWORD dst_unused:UNUSED_PAD src0_sel:WORD_1 src1_sel:WORD_1
	v_sub_f16_e32 v61, v1, v7
	v_sub_f16_e32 v62, v7, v1
	v_add_f16_sdwa v63, v7, v3 dst_sel:DWORD dst_unused:UNUSED_PAD src0_sel:WORD_1 src1_sel:WORD_1
	v_sub_f16_e32 v64, v7, v3
	v_sub_f16_sdwa v65, v1, v7 dst_sel:DWORD dst_unused:UNUSED_PAD src0_sel:WORD_1 src1_sel:WORD_1
	v_sub_f16_sdwa v7, v7, v1 dst_sel:DWORD dst_unused:UNUSED_PAD src0_sel:WORD_1 src1_sel:WORD_1
	;; [unrolled: 1-line block ×3, first 2 shown]
	v_add_f16_e32 v67, v1, v5
	v_sub_f16_e32 v68, v1, v5
	v_add_f16_sdwa v1, v1, v5 dst_sel:DWORD dst_unused:UNUSED_PAD src0_sel:WORD_1 src1_sel:WORD_1
	v_sub_f16_e32 v69, v5, v3
	v_sub_f16_e32 v70, v3, v5
	v_sub_f16_sdwa v71, v5, v3 dst_sel:DWORD dst_unused:UNUSED_PAD src0_sel:WORD_1 src1_sel:WORD_1
	v_sub_f16_sdwa v3, v3, v5 dst_sel:DWORD dst_unused:UNUSED_PAD src0_sel:WORD_1 src1_sel:WORD_1
	v_pk_add_f16 v5, v12, v5
	v_pk_add_f16 v12, v39, v46
	;; [unrolled: 1-line block ×5, first 2 shown]
	v_add_f16_e32 v80, v47, v49
	v_pk_add_f16 v12, v12, v50
	v_pk_add_f16 v72, v72, v49
	v_add_f16_e32 v73, v48, v50
	v_sub_f16_sdwa v74, v48, v50 dst_sel:DWORD dst_unused:UNUSED_PAD src0_sel:WORD_1 src1_sel:WORD_1
	v_sub_f16_e32 v75, v46, v48
	v_sub_f16_e32 v76, v48, v46
	v_add_f16_sdwa v77, v48, v50 dst_sel:DWORD dst_unused:UNUSED_PAD src0_sel:WORD_1 src1_sel:WORD_1
	v_sub_f16_e32 v78, v48, v50
	v_sub_f16_sdwa v79, v46, v48 dst_sel:DWORD dst_unused:UNUSED_PAD src0_sel:WORD_1 src1_sel:WORD_1
	v_sub_f16_sdwa v48, v48, v46 dst_sel:DWORD dst_unused:UNUSED_PAD src0_sel:WORD_1 src1_sel:WORD_1
	;; [unrolled: 1-line block ×3, first 2 shown]
	v_sub_f16_e32 v82, v45, v47
	v_sub_f16_e32 v83, v47, v45
	v_add_f16_sdwa v84, v47, v49 dst_sel:DWORD dst_unused:UNUSED_PAD src0_sel:WORD_1 src1_sel:WORD_1
	v_sub_f16_e32 v85, v47, v49
	v_sub_f16_sdwa v86, v45, v47 dst_sel:DWORD dst_unused:UNUSED_PAD src0_sel:WORD_1 src1_sel:WORD_1
	v_sub_f16_sdwa v47, v47, v45 dst_sel:DWORD dst_unused:UNUSED_PAD src0_sel:WORD_1 src1_sel:WORD_1
	;; [unrolled: 1-line block ×3, first 2 shown]
	v_add_f16_e32 v88, v46, v57
	v_sub_f16_e32 v89, v46, v57
	v_add_f16_sdwa v46, v46, v57 dst_sel:DWORD dst_unused:UNUSED_PAD src0_sel:WORD_1 src1_sel:WORD_1
	v_sub_f16_sdwa v90, v45, v56 dst_sel:DWORD dst_unused:UNUSED_PAD src0_sel:WORD_1 src1_sel:WORD_1
	v_add_f16_e32 v91, v45, v56
	v_sub_f16_e32 v92, v45, v56
	v_add_f16_sdwa v45, v45, v56 dst_sel:DWORD dst_unused:UNUSED_PAD src0_sel:WORD_1 src1_sel:WORD_1
	v_sub_f16_e32 v93, v57, v50
	v_sub_f16_e32 v94, v50, v57
	v_sub_f16_sdwa v95, v57, v50 dst_sel:DWORD dst_unused:UNUSED_PAD src0_sel:WORD_1 src1_sel:WORD_1
	v_sub_f16_sdwa v50, v50, v57 dst_sel:DWORD dst_unused:UNUSED_PAD src0_sel:WORD_1 src1_sel:WORD_1
	v_sub_f16_e32 v96, v56, v49
	v_sub_f16_e32 v97, v49, v56
	v_sub_f16_sdwa v98, v56, v49 dst_sel:DWORD dst_unused:UNUSED_PAD src0_sel:WORD_1 src1_sel:WORD_1
	v_sub_f16_sdwa v49, v49, v56 dst_sel:DWORD dst_unused:UNUSED_PAD src0_sel:WORD_1 src1_sel:WORD_1
	v_pk_add_f16 v12, v12, v57
	v_pk_add_f16 v56, v72, v56
	v_add_f16_e32 v57, v61, v69
	v_fma_f16 v61, v25, -0.5, v37
	v_fma_f16 v67, v67, -0.5, v37
	v_lshrrev_b32_e32 v37, 16, v37
	v_fma_f16 v72, v80, -0.5, v38
	v_lshrrev_b32_e32 v80, 16, v38
	v_add_f16_e32 v69, v82, v96
	v_fma_f16 v82, v84, -0.5, v80
	v_fma_f16 v1, v1, -0.5, v37
	v_fma_f16 v84, v92, s6, v82
	v_fma_f16 v63, v63, -0.5, v37
	v_add_f16_e32 v3, v7, v3
	v_fma_f16 v7, v64, s10, v1
	v_fma_f16 v1, v64, s6, v1
	v_fma_f16 v37, v91, -0.5, v38
	v_add_f16_e32 v65, v65, v71
	v_add_f16_e32 v71, v86, v98
	v_fma_f16 v25, v90, s10, v72
	v_fma_f16 v84, v85, s4, v84
	;; [unrolled: 1-line block ×10, first 2 shown]
	v_add_f16_e32 v3, v83, v97
	v_fma_f16 v38, v90, s7, v38
	v_fma_f16 v37, v90, s4, v37
	;; [unrolled: 1-line block ×3, first 2 shown]
	v_mul_f16_e32 v86, 0xb8b4, v84
	v_fma_f16 v38, v3, s5, v38
	v_fma_f16 v3, v3, s5, v37
	v_fma_f16 v37, v45, -0.5, v80
	v_fma_f16 v86, v25, s11, v86
	v_mul_f16_e32 v25, 0x38b4, v25
	v_add_f16_e32 v45, v47, v49
	v_fma_f16 v47, v85, s10, v37
	v_fma_f16 v84, v84, s11, v25
	;; [unrolled: 1-line block ×10, first 2 shown]
	v_add_f16_e32 v62, v62, v70
	v_fma_f16 v70, v60, s6, v67
	v_fma_f16 v67, v60, s10, v67
	;; [unrolled: 1-line block ×3, first 2 shown]
	v_mul_f16_e32 v45, 0xbb9c, v47
	v_mul_f16_e32 v47, 0x34f2, v47
	v_fma_f16 v25, v64, s4, v25
	v_fma_f16 v70, v66, s7, v70
	;; [unrolled: 1-line block ×5, first 2 shown]
	v_mul_f16_e32 v47, 0xbb9c, v37
	v_mul_f16_e32 v37, 0xb4f2, v37
	v_fma_f16 v98, v65, s5, v25
	v_fma_f16 v70, v62, s5, v70
	;; [unrolled: 1-line block ×5, first 2 shown]
	v_add_f16_e32 v25, v96, v86
	v_add_f16_e32 v99, v98, v84
	v_add_f16_e32 v37, v62, v47
	v_add_f16_e32 v49, v1, v3
	v_pack_b32_f16 v99, v25, v99
	v_mul_i32_i24_e32 v25, 10, v20
	v_pack_b32_f16 v37, v37, v49
	v_add_f16_e32 v49, v70, v45
	v_add_f16_e32 v67, v7, v38
	v_lshl_add_u32 v25, v25, 2, 0
	v_pack_b32_f16 v49, v49, v67
	ds_write2_b32 v25, v49, v37 offset0:2 offset1:3
	v_fma_f16 v37, v66, s6, v61
	v_fma_f16 v37, v60, s4, v37
	;; [unrolled: 1-line block ×11, first 2 shown]
	v_mul_f16_e32 v61, 0xb8b4, v60
	v_mul_f16_e32 v60, 0xba79, v60
	v_fma_f16 v49, v65, s5, v49
	v_fma_f16 v61, v57, s13, v61
	;; [unrolled: 1-line block ×3, first 2 shown]
	v_pk_add_f16 v100, v5, v56
	v_pk_add_f16 v5, v5, v56 neg_lo:[0,1] neg_hi:[0,1]
	v_add_f16_e32 v56, v37, v61
	v_add_f16_e32 v60, v49, v57
	v_pack_b32_f16 v56, v56, v60
	ds_write2_b32 v25, v56, v5 offset0:4 offset1:5
	v_sub_f16_e32 v5, v96, v86
	v_sub_f16_e32 v45, v70, v45
	;; [unrolled: 1-line block ×4, first 2 shown]
	v_pack_b32_f16 v7, v45, v7
	v_pack_b32_f16 v5, v5, v56
	ds_write2_b32 v25, v5, v7 offset0:6 offset1:7
	v_sub_f16_e32 v5, v62, v47
	v_sub_f16_e32 v7, v37, v61
	;; [unrolled: 1-line block ×4, first 2 shown]
	v_pack_b32_f16 v3, v7, v3
	v_pack_b32_f16 v1, v5, v1
	v_lshrrev_b32_e32 v37, 16, v39
	ds_write2_b32 v25, v1, v3 offset0:8 offset1:9
	v_add_f16_e32 v1, v6, v42
	v_fma_f16 v2, v2, -0.5, v34
	v_fma_f16 v3, v27, -0.5, v34
	v_lshrrev_b32_e32 v5, 16, v34
	v_add_f16_e32 v6, v15, v59
	v_fma_f16 v15, v73, -0.5, v39
	v_fma_f16 v34, v88, -0.5, v39
	;; [unrolled: 1-line block ×3, first 2 shown]
	v_fma_f16 v42, v89, s6, v39
	v_add_f16_e32 v38, v79, v95
	v_fma_f16 v27, v87, s10, v15
	v_fma_f16 v42, v78, s4, v42
	v_add_f16_e32 v7, v75, v93
	v_fma_f16 v27, v74, s7, v27
	v_fma_f16 v42, v38, s5, v42
	;; [unrolled: 1-line block ×3, first 2 shown]
	v_mul_f16_e32 v45, 0xb8b4, v42
	v_fma_f16 v45, v27, s11, v45
	v_mul_f16_e32 v27, 0x38b4, v27
	v_fma_f16 v42, v42, s11, v27
	v_fma_f16 v27, v35, s10, v2
	;; [unrolled: 1-line block ×3, first 2 shown]
	v_fma_f16 v11, v11, -0.5, v5
	v_fma_f16 v47, v1, s5, v27
	v_fma_f16 v27, v36, s6, v11
	;; [unrolled: 1-line block ×4, first 2 shown]
	v_add_f16_e32 v27, v47, v45
	v_add_f16_e32 v56, v49, v42
	v_pack_b32_f16 v56, v27, v56
	v_mul_i32_i24_e32 v27, 10, v33
	v_lshl_add_u32 v27, v27, 2, 0
	v_pk_add_f16 v57, v0, v12
	ds_write2_b32 v25, v100, v99 offset1:1
	ds_write2_b32 v27, v57, v56 offset1:1
	v_fma_f16 v56, v4, s6, v3
	v_fma_f16 v3, v4, s10, v3
	v_fma_f16 v2, v35, s6, v2
	v_add_f16_e32 v9, v9, v58
	v_fma_f16 v56, v35, s7, v56
	v_fma_f16 v3, v35, s4, v3
	v_fma_f16 v5, v8, -0.5, v5
	v_fma_f16 v2, v4, s4, v2
	v_fma_f16 v56, v9, s5, v56
	v_fma_f16 v3, v9, s5, v3
	v_fma_f16 v9, v13, s10, v5
	v_fma_f16 v5, v13, s6, v5
	v_fma_f16 v1, v1, s5, v2
	v_fma_f16 v2, v36, s10, v11
	v_add_f16_e32 v8, v14, v10
	v_fma_f16 v9, v36, s4, v9
	v_fma_f16 v5, v36, s7, v5
	v_fma_f16 v10, v74, s6, v34
	v_fma_f16 v14, v74, s10, v34
	v_fma_f16 v2, v13, s7, v2
	v_fma_f16 v9, v8, s5, v9
	v_fma_f16 v5, v8, s5, v5
	v_add_f16_e32 v8, v76, v94
	v_fma_f16 v10, v87, s7, v10
	v_fma_f16 v14, v87, s4, v14
	;; [unrolled: 1-line block ×6, first 2 shown]
	v_fma_f16 v14, v46, -0.5, v37
	v_fma_f16 v4, v87, s6, v15
	v_fma_f16 v6, v78, s7, v6
	;; [unrolled: 1-line block ×5, first 2 shown]
	v_add_f16_e32 v34, v48, v50
	v_fma_f16 v37, v89, s4, v37
	v_fma_f16 v14, v78, s6, v14
	;; [unrolled: 1-line block ×3, first 2 shown]
	v_mul_f16_e32 v7, 0xb8b4, v6
	v_mul_f16_e32 v6, 0xba79, v6
	v_fma_f16 v37, v34, s5, v37
	v_fma_f16 v14, v89, s7, v14
	;; [unrolled: 1-line block ×5, first 2 shown]
	v_mul_f16_e32 v34, 0xbb9c, v37
	v_mul_f16_e32 v37, 0x34f2, v37
	v_add_f16_e32 v6, v1, v7
	v_add_f16_e32 v11, v2, v4
	v_fma_f16 v34, v10, s5, v34
	v_fma_f16 v10, v10, s6, v37
	v_pk_add_f16 v0, v0, v12 neg_lo:[0,1] neg_hi:[0,1]
	v_pack_b32_f16 v6, v6, v11
	v_mul_f16_e32 v37, 0xbb9c, v14
	v_mul_f16_e32 v14, 0xb4f2, v14
	v_add_f16_e32 v48, v9, v10
	ds_write2_b32 v27, v6, v0 offset0:4 offset1:5
	v_sub_f16_e32 v0, v47, v45
	v_sub_f16_e32 v6, v56, v34
	;; [unrolled: 1-line block ×4, first 2 shown]
	v_fma_f16 v37, v8, s12, v37
	v_fma_f16 v8, v8, s6, v14
	v_pack_b32_f16 v6, v6, v9
	v_pack_b32_f16 v0, v0, v11
	v_add_f16_e32 v14, v3, v37
	ds_write2_b32 v27, v0, v6 offset0:6 offset1:7
	v_sub_f16_e32 v0, v3, v37
	v_sub_f16_e32 v1, v1, v7
	;; [unrolled: 1-line block ×4, first 2 shown]
	v_pack_b32_f16 v1, v1, v2
	v_pack_b32_f16 v0, v0, v3
	s_movk_i32 s0, 0xcd
	ds_write2_b32 v27, v0, v1 offset0:8 offset1:9
	v_mul_lo_u16_sdwa v0, v16, s0 dst_sel:DWORD dst_unused:UNUSED_PAD src0_sel:BYTE_0 src1_sel:DWORD
	v_add_f16_e32 v46, v5, v8
	v_lshrrev_b16_e32 v8, 11, v0
	v_mul_lo_u16_e32 v0, 10, v8
	v_pack_b32_f16 v14, v14, v46
	v_add_f16_e32 v46, v56, v34
	v_sub_u16_e32 v9, v16, v0
	v_mov_b32_e32 v0, 3
	v_pack_b32_f16 v46, v46, v48
	v_lshlrev_b32_sdwa v1, v0, v9 dst_sel:DWORD dst_unused:UNUSED_PAD src0_sel:DWORD src1_sel:BYTE_0
	ds_write2_b32 v27, v46, v14 offset0:2 offset1:3
	s_waitcnt lgkmcnt(0)
	s_barrier
	global_load_dwordx2 v[34:35], v1, s[8:9]
	v_mul_lo_u16_sdwa v1, v20, s0 dst_sel:DWORD dst_unused:UNUSED_PAD src0_sel:BYTE_0 src1_sel:DWORD
	v_lshrrev_b16_e32 v10, 11, v1
	v_mul_lo_u16_e32 v1, 10, v10
	v_sub_u16_e32 v11, v20, v1
	v_lshlrev_b32_sdwa v0, v0, v11 dst_sel:DWORD dst_unused:UNUSED_PAD src0_sel:DWORD src1_sel:BYTE_0
	global_load_dwordx2 v[36:37], v0, s[8:9]
	s_mov_b32 s0, 0xcccd
	v_mul_u32_u24_sdwa v0, v33, s0 dst_sel:DWORD dst_unused:UNUSED_PAD src0_sel:WORD_0 src1_sel:DWORD
	v_lshrrev_b32_e32 v6, 19, v0
	v_mul_lo_u16_e32 v0, 10, v6
	v_sub_u16_e32 v7, v33, v0
	v_lshlrev_b32_e32 v0, 3, v7
	v_mul_u32_u24_sdwa v1, v24, s0 dst_sel:DWORD dst_unused:UNUSED_PAD src0_sel:WORD_0 src1_sel:DWORD
	global_load_dwordx2 v[2:3], v0, s[8:9]
	v_lshrrev_b32_e32 v4, 19, v1
	v_mul_lo_u16_e32 v0, 10, v4
	v_sub_u16_e32 v5, v24, v0
	v_lshlrev_b32_e32 v0, 3, v5
	global_load_dwordx2 v[0:1], v0, s[8:9]
	v_mul_u32_u24_sdwa v12, v26, s0 dst_sel:DWORD dst_unused:UNUSED_PAD src0_sel:WORD_0 src1_sel:DWORD
	v_lshrrev_b32_e32 v12, 19, v12
	v_mul_u32_u24_sdwa v14, v28, s0 dst_sel:DWORD dst_unused:UNUSED_PAD src0_sel:WORD_0 src1_sel:DWORD
	v_mul_lo_u16_e32 v13, 10, v12
	v_lshrrev_b32_e32 v14, 19, v14
	ds_read2_b32 v[38:39], v54 offset0:104 offset1:204
	v_sub_u16_e32 v13, v26, v13
	v_mul_lo_u16_e32 v15, 10, v14
	v_lshlrev_b32_e32 v42, 3, v13
	v_sub_u16_e32 v15, v28, v15
	ds_read2_b32 v[56:57], v43 offset0:80 offset1:180
	v_lshlrev_b32_e32 v45, 3, v15
	global_load_dwordx2 v[58:59], v42, s[8:9]
	global_load_dwordx2 v[60:61], v45, s[8:9]
	v_lshl_add_u32 v49, v24, 2, 0
	v_lshl_add_u32 v48, v26, 2, 0
	;; [unrolled: 1-line block ×6, first 2 shown]
	ds_read_u16 v62, v40 offset:4002
	ds_read_b32 v66, v49
	ds_read_b32 v67, v48
	;; [unrolled: 1-line block ×7, first 2 shown]
	ds_read2_b32 v[64:65], v31 offset0:48 offset1:148
	v_mul_u32_u24_e32 v8, 0x78, v8
	s_movk_i32 s1, 0x3aee
	s_movk_i32 s14, 0xffdc
	v_mul_u32_u24_e32 v10, 0x78, v10
	s_waitcnt lgkmcnt(0)
	v_lshrrev_b32_e32 v88, 16, v64
	v_mul_u32_u24_e32 v6, 0x78, v6
	v_lshlrev_b32_e32 v7, 2, v7
	v_add3_u32 v6, 0, v6, v7
	v_mul_u32_u24_e32 v4, 0x78, v4
	v_lshlrev_b32_e32 v5, 2, v5
	v_add3_u32 v4, 0, v4, v5
	s_waitcnt vmcnt(5)
	v_mul_f16_sdwa v50, v34, v38 dst_sel:DWORD dst_unused:UNUSED_PAD src0_sel:WORD_1 src1_sel:DWORD
	v_fma_f16 v50, v62, v34, -v50
	v_mul_f16_sdwa v62, v62, v34 dst_sel:DWORD dst_unused:UNUSED_PAD src0_sel:DWORD src1_sel:WORD_1
	v_fma_f16 v73, v34, v38, v62
	v_mul_u32_u24_sdwa v38, v30, s0 dst_sel:DWORD dst_unused:UNUSED_PAD src0_sel:WORD_0 src1_sel:DWORD
	v_lshrrev_b32_e32 v74, 19, v38
	v_mul_lo_u16_e32 v38, 10, v74
	v_sub_u16_e32 v75, v30, v38
	v_lshlrev_b32_e32 v38, 3, v75
	v_lshrrev_b32_e32 v34, 16, v56
	global_load_dwordx2 v[62:63], v38, s[8:9]
	v_mul_f16_sdwa v38, v56, v35 dst_sel:DWORD dst_unused:UNUSED_PAD src0_sel:DWORD src1_sel:WORD_1
	v_fma_f16 v76, v34, v35, -v38
	v_mul_f16_sdwa v34, v34, v35 dst_sel:DWORD dst_unused:UNUSED_PAD src0_sel:DWORD src1_sel:WORD_1
	v_fma_f16 v77, v56, v35, v34
	v_mul_u32_u24_sdwa v34, v32, s0 dst_sel:DWORD dst_unused:UNUSED_PAD src0_sel:WORD_0 src1_sel:DWORD
	v_lshrrev_b32_e32 v78, 19, v34
	v_mul_lo_u16_e32 v34, 10, v78
	v_sub_u16_e32 v79, v32, v34
	v_lshlrev_b32_e32 v34, 3, v79
	global_load_dwordx2 v[34:35], v34, s[8:9]
	v_lshrrev_b32_e32 v38, 16, v39
	s_waitcnt vmcnt(6)
	v_mul_f16_sdwa v56, v38, v36 dst_sel:DWORD dst_unused:UNUSED_PAD src0_sel:DWORD src1_sel:WORD_1
	v_fma_f16 v80, v39, v36, v56
	v_mul_f16_sdwa v39, v39, v36 dst_sel:DWORD dst_unused:UNUSED_PAD src0_sel:DWORD src1_sel:WORD_1
	v_fma_f16 v81, v38, v36, -v39
	v_mul_u32_u24_sdwa v38, v23, s0 dst_sel:DWORD dst_unused:UNUSED_PAD src0_sel:WORD_0 src1_sel:DWORD
	v_lshrrev_b32_e32 v82, 19, v38
	v_mul_lo_u16_e32 v38, 10, v82
	v_lshrrev_b32_e32 v36, 16, v57
	v_sub_u16_e32 v83, v23, v38
	v_lshlrev_b32_e32 v38, 3, v83
	global_load_dwordx2 v[38:39], v38, s[8:9]
	v_mul_f16_sdwa v56, v36, v37 dst_sel:DWORD dst_unused:UNUSED_PAD src0_sel:DWORD src1_sel:WORD_1
	v_fma_f16 v84, v57, v37, v56
	v_mul_u32_u24_sdwa v56, v22, s0 dst_sel:DWORD dst_unused:UNUSED_PAD src0_sel:WORD_0 src1_sel:DWORD
	v_lshrrev_b32_e32 v86, 19, v56
	v_mul_lo_u16_e32 v56, 10, v86
	v_sub_u16_e32 v87, v22, v56
	v_lshlrev_b32_e32 v56, 3, v87
	v_mul_f16_sdwa v85, v57, v37 dst_sel:DWORD dst_unused:UNUSED_PAD src0_sel:DWORD src1_sel:WORD_1
	global_load_dwordx2 v[56:57], v56, s[8:9]
	v_fma_f16 v85, v36, v37, -v85
	ds_read2_b32 v[36:37], v52 offset0:152 offset1:252
	s_waitcnt vmcnt(7)
	v_mul_f16_sdwa v89, v64, v2 dst_sel:DWORD dst_unused:UNUSED_PAD src0_sel:DWORD src1_sel:WORD_1
	v_fma_f16 v89, v88, v2, -v89
	v_mul_f16_sdwa v88, v88, v2 dst_sel:DWORD dst_unused:UNUSED_PAD src0_sel:DWORD src1_sel:WORD_1
	v_fma_f16 v64, v64, v2, v88
	s_waitcnt lgkmcnt(0)
	v_lshrrev_b32_e32 v2, 16, v36
	v_mul_f16_sdwa v88, v36, v3 dst_sel:DWORD dst_unused:UNUSED_PAD src0_sel:DWORD src1_sel:WORD_1
	v_fma_f16 v88, v2, v3, -v88
	v_mul_f16_sdwa v2, v2, v3 dst_sel:DWORD dst_unused:UNUSED_PAD src0_sel:DWORD src1_sel:WORD_1
	v_fma_f16 v36, v36, v3, v2
	v_lshrrev_b32_e32 v2, 16, v65
	s_waitcnt vmcnt(6)
	v_mul_f16_sdwa v3, v2, v0 dst_sel:DWORD dst_unused:UNUSED_PAD src0_sel:DWORD src1_sel:WORD_1
	v_fma_f16 v90, v65, v0, v3
	v_mul_f16_sdwa v3, v65, v0 dst_sel:DWORD dst_unused:UNUSED_PAD src0_sel:DWORD src1_sel:WORD_1
	v_fma_f16 v65, v2, v0, -v3
	v_lshrrev_b32_e32 v0, 16, v37
	ds_read2_b32 v[2:3], v44 offset0:120 offset1:220
	v_mul_f16_sdwa v91, v0, v1 dst_sel:DWORD dst_unused:UNUSED_PAD src0_sel:DWORD src1_sel:WORD_1
	v_fma_f16 v91, v37, v1, v91
	v_mul_f16_sdwa v37, v37, v1 dst_sel:DWORD dst_unused:UNUSED_PAD src0_sel:DWORD src1_sel:WORD_1
	v_fma_f16 v37, v0, v1, -v37
	ds_read2_b32 v[0:1], v21 offset0:96 offset1:196
	s_waitcnt lgkmcnt(1)
	v_lshrrev_b32_e32 v92, 16, v2
	s_waitcnt vmcnt(5)
	v_mul_f16_sdwa v93, v2, v58 dst_sel:DWORD dst_unused:UNUSED_PAD src0_sel:DWORD src1_sel:WORD_1
	v_fma_f16 v93, v92, v58, -v93
	v_mul_f16_sdwa v92, v92, v58 dst_sel:DWORD dst_unused:UNUSED_PAD src0_sel:DWORD src1_sel:WORD_1
	v_fma_f16 v58, v2, v58, v92
	s_waitcnt lgkmcnt(0)
	v_lshrrev_b32_e32 v2, 16, v0
	v_mul_f16_sdwa v92, v0, v59 dst_sel:DWORD dst_unused:UNUSED_PAD src0_sel:DWORD src1_sel:WORD_1
	v_fma_f16 v92, v2, v59, -v92
	v_mul_f16_sdwa v2, v2, v59 dst_sel:DWORD dst_unused:UNUSED_PAD src0_sel:DWORD src1_sel:WORD_1
	v_fma_f16 v59, v0, v59, v2
	v_lshrrev_b32_e32 v0, 16, v3
	s_waitcnt vmcnt(4)
	v_mul_f16_sdwa v2, v0, v60 dst_sel:DWORD dst_unused:UNUSED_PAD src0_sel:DWORD src1_sel:WORD_1
	v_fma_f16 v94, v3, v60, v2
	v_mul_f16_sdwa v2, v3, v60 dst_sel:DWORD dst_unused:UNUSED_PAD src0_sel:DWORD src1_sel:WORD_1
	v_fma_f16 v60, v0, v60, -v2
	v_lshrrev_b32_e32 v0, 16, v1
	ds_read2_b32 v[2:3], v53 offset0:64 offset1:164
	v_mul_f16_sdwa v95, v0, v61 dst_sel:DWORD dst_unused:UNUSED_PAD src0_sel:DWORD src1_sel:WORD_1
	v_fma_f16 v95, v1, v61, v95
	v_mul_f16_sdwa v1, v1, v61 dst_sel:DWORD dst_unused:UNUSED_PAD src0_sel:DWORD src1_sel:WORD_1
	v_fma_f16 v61, v0, v61, -v1
	ds_read2_b32 v[0:1], v41 offset0:40 offset1:140
	s_waitcnt lgkmcnt(1)
	v_lshrrev_b32_e32 v96, 16, v2
	v_sub_f16_e32 v103, v50, v76
	s_mov_b32 s0, 0xbaee
	s_waitcnt vmcnt(3)
	v_mul_f16_sdwa v97, v2, v62 dst_sel:DWORD dst_unused:UNUSED_PAD src0_sel:DWORD src1_sel:WORD_1
	v_fma_f16 v97, v96, v62, -v97
	v_mul_f16_sdwa v96, v96, v62 dst_sel:DWORD dst_unused:UNUSED_PAD src0_sel:DWORD src1_sel:WORD_1
	v_fma_f16 v62, v2, v62, v96
	s_waitcnt lgkmcnt(0)
	v_lshrrev_b32_e32 v2, 16, v0
	v_mul_f16_sdwa v96, v0, v63 dst_sel:DWORD dst_unused:UNUSED_PAD src0_sel:DWORD src1_sel:WORD_1
	v_fma_f16 v96, v2, v63, -v96
	v_mul_f16_sdwa v2, v2, v63 dst_sel:DWORD dst_unused:UNUSED_PAD src0_sel:DWORD src1_sel:WORD_1
	v_fma_f16 v63, v0, v63, v2
	v_lshrrev_b32_e32 v0, 16, v3
	s_waitcnt vmcnt(2)
	v_mul_f16_sdwa v2, v0, v34 dst_sel:DWORD dst_unused:UNUSED_PAD src0_sel:DWORD src1_sel:WORD_1
	v_fma_f16 v98, v3, v34, v2
	v_mul_f16_sdwa v2, v3, v34 dst_sel:DWORD dst_unused:UNUSED_PAD src0_sel:DWORD src1_sel:WORD_1
	v_fma_f16 v99, v0, v34, -v2
	v_lshrrev_b32_e32 v0, 16, v1
	ds_read2_b32 v[2:3], v29 offset0:8 offset1:108
	v_mul_f16_sdwa v34, v0, v35 dst_sel:DWORD dst_unused:UNUSED_PAD src0_sel:DWORD src1_sel:WORD_1
	v_fma_f16 v100, v1, v35, v34
	v_mul_f16_sdwa v1, v1, v35 dst_sel:DWORD dst_unused:UNUSED_PAD src0_sel:DWORD src1_sel:WORD_1
	v_fma_f16 v35, v0, v35, -v1
	ds_read2_b32 v[0:1], v51 offset0:112 offset1:212
	s_waitcnt lgkmcnt(1)
	v_lshrrev_b32_e32 v34, 16, v2
	s_waitcnt vmcnt(1)
	v_mul_f16_sdwa v101, v2, v38 dst_sel:DWORD dst_unused:UNUSED_PAD src0_sel:DWORD src1_sel:WORD_1
	v_fma_f16 v101, v34, v38, -v101
	v_mul_f16_sdwa v34, v34, v38 dst_sel:DWORD dst_unused:UNUSED_PAD src0_sel:DWORD src1_sel:WORD_1
	v_fma_f16 v2, v2, v38, v34
	s_waitcnt lgkmcnt(0)
	v_lshrrev_b32_e32 v34, 16, v0
	v_mul_f16_sdwa v38, v0, v39 dst_sel:DWORD dst_unused:UNUSED_PAD src0_sel:DWORD src1_sel:WORD_1
	v_fma_f16 v38, v34, v39, -v38
	v_mul_f16_sdwa v34, v34, v39 dst_sel:DWORD dst_unused:UNUSED_PAD src0_sel:DWORD src1_sel:WORD_1
	v_fma_f16 v0, v0, v39, v34
	v_lshrrev_b32_e32 v34, 16, v3
	s_waitcnt vmcnt(0)
	v_mul_f16_sdwa v39, v34, v56 dst_sel:DWORD dst_unused:UNUSED_PAD src0_sel:DWORD src1_sel:WORD_1
	v_fma_f16 v39, v3, v56, v39
	v_mul_f16_sdwa v3, v3, v56 dst_sel:DWORD dst_unused:UNUSED_PAD src0_sel:DWORD src1_sel:WORD_1
	v_fma_f16 v3, v34, v56, -v3
	v_lshrrev_b32_e32 v34, 16, v1
	v_mul_f16_sdwa v56, v34, v57 dst_sel:DWORD dst_unused:UNUSED_PAD src0_sel:DWORD src1_sel:WORD_1
	v_fma_f16 v102, v1, v57, v56
	v_mul_f16_sdwa v1, v1, v57 dst_sel:DWORD dst_unused:UNUSED_PAD src0_sel:DWORD src1_sel:WORD_1
	v_fma_f16 v1, v34, v57, -v1
	v_lshrrev_b32_e32 v34, 16, v72
	v_add_f16_e32 v56, v34, v50
	v_add_f16_e32 v50, v50, v76
	;; [unrolled: 1-line block ×3, first 2 shown]
	v_fma_f16 v76, v50, -0.5, v34
	v_add_f16_e32 v34, v73, v77
	v_fma_f16 v104, v34, -0.5, v72
	v_add_f16_e32 v34, v72, v73
	v_add_f16_e32 v50, v34, v77
	v_mov_b32_e32 v34, 2
	v_sub_f16_e32 v72, v73, v77
	v_lshlrev_b32_sdwa v9, v34, v9 dst_sel:DWORD dst_unused:UNUSED_PAD src0_sel:DWORD src1_sel:BYTE_0
	v_add3_u32 v8, 0, v8, v9
	v_pack_b32_f16 v9, v50, v56
	v_fma_f16 v50, v103, s0, v104
	v_fma_f16 v56, v72, s1, v76
	v_pack_b32_f16 v73, v50, v56
	v_mad_i32_i24 v56, v33, s14, v27
	v_mad_i32_i24 v57, v20, s14, v25
	v_lshl_add_u32 v50, v22, 2, 0
	ds_read_b32 v77, v56
	ds_read_b32 v105, v57
	;; [unrolled: 1-line block ×3, first 2 shown]
	s_waitcnt lgkmcnt(0)
	s_barrier
	ds_write2_b32 v8, v9, v73 offset1:10
	v_fma_f16 v9, v103, s1, v104
	v_fma_f16 v72, v72, s0, v76
	v_pack_b32_f16 v9, v9, v72
	ds_write_b32 v8, v9 offset:80
	v_lshrrev_b32_e32 v8, 16, v105
	v_add_f16_e32 v73, v81, v85
	v_add_f16_e32 v9, v8, v81
	v_fma_f16 v8, v73, -0.5, v8
	v_add_f16_e32 v73, v80, v84
	v_add_f16_e32 v76, v105, v80
	v_add_f16_e32 v9, v9, v85
	v_sub_f16_e32 v72, v81, v85
	v_fma_f16 v73, v73, -0.5, v105
	v_add_f16_e32 v76, v76, v84
	v_sub_f16_e32 v80, v80, v84
	v_lshlrev_b32_sdwa v11, v34, v11 dst_sel:DWORD dst_unused:UNUSED_PAD src0_sel:DWORD src1_sel:BYTE_0
	v_add3_u32 v10, 0, v10, v11
	v_pack_b32_f16 v9, v76, v9
	v_fma_f16 v11, v72, s0, v73
	v_fma_f16 v76, v80, s1, v8
	v_pack_b32_f16 v11, v11, v76
	ds_write2_b32 v10, v9, v11 offset1:10
	v_fma_f16 v9, v72, s1, v73
	v_fma_f16 v8, v80, s0, v8
	v_pack_b32_f16 v8, v9, v8
	ds_write_b32 v10, v8 offset:80
	v_lshrrev_b32_e32 v8, 16, v77
	v_add_f16_e32 v11, v89, v88
	v_add_f16_e32 v9, v8, v89
	v_fma_f16 v8, v11, -0.5, v8
	v_add_f16_e32 v11, v64, v36
	v_add_f16_e32 v72, v77, v64
	v_add_f16_e32 v9, v9, v88
	v_sub_f16_e32 v10, v89, v88
	v_fma_f16 v11, v11, -0.5, v77
	v_add_f16_e32 v72, v72, v36
	v_sub_f16_e32 v36, v64, v36
	v_pack_b32_f16 v7, v72, v9
	v_fma_f16 v9, v10, s0, v11
	v_fma_f16 v64, v36, s1, v8
	v_pack_b32_f16 v9, v9, v64
	ds_write2_b32 v6, v7, v9 offset1:10
	v_fma_f16 v7, v10, s1, v11
	v_fma_f16 v8, v36, s0, v8
	v_pack_b32_f16 v7, v7, v8
	ds_write_b32 v6, v7 offset:80
	v_lshrrev_b32_e32 v6, 16, v66
	v_add_f16_e32 v9, v65, v37
	v_add_f16_e32 v7, v6, v65
	v_fma_f16 v6, v9, -0.5, v6
	v_add_f16_e32 v9, v90, v91
	v_add_f16_e32 v10, v66, v90
	v_add_f16_e32 v7, v7, v37
	v_sub_f16_e32 v8, v65, v37
	v_fma_f16 v9, v9, -0.5, v66
	v_add_f16_e32 v10, v10, v91
	v_sub_f16_e32 v11, v90, v91
	;; [unrolled: 20-line block ×3, first 2 shown]
	v_mul_u32_u24_e32 v10, 0x78, v12
	v_lshlrev_b32_e32 v11, 2, v13
	v_add3_u32 v10, 0, v10, v11
	v_pack_b32_f16 v5, v8, v5
	v_fma_f16 v8, v6, s0, v7
	v_fma_f16 v11, v9, s1, v4
	v_pack_b32_f16 v8, v8, v11
	ds_write2_b32 v10, v5, v8 offset1:10
	v_fma_f16 v5, v6, s1, v7
	v_fma_f16 v4, v9, s0, v4
	v_pack_b32_f16 v4, v5, v4
	ds_write_b32 v10, v4 offset:80
	v_lshrrev_b32_e32 v4, 16, v68
	v_add_f16_e32 v7, v60, v61
	v_add_f16_e32 v5, v4, v60
	v_fma_f16 v4, v7, -0.5, v4
	v_add_f16_e32 v7, v94, v95
	v_add_f16_e32 v8, v68, v94
	v_add_f16_e32 v5, v5, v61
	v_sub_f16_e32 v6, v60, v61
	v_fma_f16 v7, v7, -0.5, v68
	v_add_f16_e32 v8, v8, v95
	v_sub_f16_e32 v9, v94, v95
	v_mul_u32_u24_e32 v10, 0x78, v14
	v_lshlrev_b32_e32 v11, 2, v15
	v_add3_u32 v10, 0, v10, v11
	v_pack_b32_f16 v5, v8, v5
	v_fma_f16 v8, v6, s0, v7
	v_fma_f16 v11, v9, s1, v4
	v_pack_b32_f16 v8, v8, v11
	ds_write2_b32 v10, v5, v8 offset1:10
	v_fma_f16 v5, v6, s1, v7
	v_fma_f16 v4, v9, s0, v4
	v_pack_b32_f16 v4, v5, v4
	ds_write_b32 v10, v4 offset:80
	v_lshrrev_b32_e32 v4, 16, v69
	v_add_f16_e32 v7, v97, v96
	v_add_f16_e32 v5, v4, v97
	v_fma_f16 v4, v7, -0.5, v4
	v_add_f16_e32 v7, v62, v63
	v_add_f16_e32 v8, v69, v62
	v_add_f16_e32 v5, v5, v96
	v_sub_f16_e32 v6, v97, v96
	v_fma_f16 v7, v7, -0.5, v69
	v_add_f16_e32 v8, v8, v63
	v_sub_f16_e32 v9, v62, v63
	;; [unrolled: 23-line block ×4, first 2 shown]
	v_mul_u32_u24_e32 v2, 0x78, v82
	v_lshlrev_b32_e32 v9, 2, v83
	v_add3_u32 v2, 0, v2, v9
	v_pack_b32_f16 v5, v8, v5
	v_fma_f16 v8, v6, s0, v7
	v_fma_f16 v9, v0, s1, v4
	v_pack_b32_f16 v8, v8, v9
	ds_write2_b32 v2, v5, v8 offset1:10
	v_fma_f16 v5, v6, s1, v7
	v_fma_f16 v0, v0, s0, v4
	v_pack_b32_f16 v0, v5, v0
	ds_write_b32 v2, v0 offset:80
	v_lshrrev_b32_e32 v0, 16, v106
	v_add_f16_e32 v2, v0, v3
	v_add_f16_e32 v2, v2, v1
	v_sub_f16_e32 v4, v3, v1
	v_add_f16_e32 v1, v3, v1
	v_fma_f16 v0, v1, -0.5, v0
	v_add_f16_e32 v1, v39, v102
	v_add_f16_e32 v3, v106, v39
	v_fma_f16 v1, v1, -0.5, v106
	v_add_f16_e32 v3, v3, v102
	v_sub_f16_e32 v5, v39, v102
	v_mul_u32_u24_e32 v6, 0x78, v86
	v_lshlrev_b32_e32 v7, 2, v87
	v_add3_u32 v6, 0, v6, v7
	v_pack_b32_f16 v2, v3, v2
	v_fma_f16 v3, v4, s0, v1
	v_fma_f16 v7, v5, s1, v0
	;; [unrolled: 1-line block ×4, first 2 shown]
	v_pack_b32_f16 v0, v1, v0
	s_movk_i32 s0, 0x89
	ds_write_b32 v6, v0 offset:80
	v_mul_lo_u16_sdwa v0, v16, s0 dst_sel:DWORD dst_unused:UNUSED_PAD src0_sel:BYTE_0 src1_sel:DWORD
	v_lshrrev_b16_e32 v39, 12, v0
	v_mul_lo_u16_e32 v0, 30, v39
	v_sub_u16_e32 v59, v16, v0
	v_mov_b32_e32 v4, 9
	v_mul_u32_u24_sdwa v0, v59, v4 dst_sel:DWORD dst_unused:UNUSED_PAD src0_sel:BYTE_0 src1_sel:DWORD
	v_pack_b32_f16 v3, v3, v7
	v_lshlrev_b32_e32 v58, 2, v0
	ds_write2_b32 v6, v2, v3 offset1:10
	s_waitcnt lgkmcnt(0)
	s_barrier
	global_load_dwordx4 v[0:3], v58, s[8:9] offset:80
	v_mul_lo_u16_sdwa v5, v20, s0 dst_sel:DWORD dst_unused:UNUSED_PAD src0_sel:BYTE_0 src1_sel:DWORD
	v_lshrrev_b16_e32 v37, 12, v5
	v_mul_lo_u16_e32 v5, 30, v37
	v_sub_u16_e32 v38, v20, v5
	v_mul_u32_u24_sdwa v4, v38, v4 dst_sel:DWORD dst_unused:UNUSED_PAD src0_sel:BYTE_0 src1_sel:DWORD
	v_lshlrev_b32_e32 v61, 2, v4
	global_load_dwordx4 v[4:7], v61, s[8:9] offset:80
	s_mov_b32 s0, 0x8889
	v_mul_u32_u24_sdwa v8, v33, s0 dst_sel:DWORD dst_unused:UNUSED_PAD src0_sel:WORD_0 src1_sel:DWORD
	v_lshrrev_b32_e32 v35, 20, v8
	v_mul_lo_u16_e32 v8, 30, v35
	v_sub_u16_e32 v36, v33, v8
	v_mul_u32_u24_e32 v8, 9, v36
	v_lshlrev_b32_e32 v60, 2, v8
	global_load_dwordx4 v[8:11], v60, s[8:9] offset:80
	global_load_dwordx4 v[12:15], v58, s[8:9] offset:96
	ds_read_b32 v65, v49
	ds_read_b32 v64, v46
	;; [unrolled: 1-line block ×3, first 2 shown]
	ds_read_u16 v63, v50 offset:2
	ds_read_b32 v73, v57
	ds_read_b32 v66, v56
	;; [unrolled: 1-line block ×3, first 2 shown]
	s_waitcnt lgkmcnt(6)
	v_lshrrev_b32_e32 v67, 16, v65
	global_load_dword v83, v58, s[8:9] offset:112
	v_mul_u32_u24_e32 v37, 0x4b0, v37
	v_mul_u32_u24_e32 v35, 0x4b0, v35
	s_waitcnt lgkmcnt(0)
	v_lshrrev_b32_e32 v113, 16, v74
	v_lshlrev_b32_e32 v36, 2, v36
	v_add3_u32 v35, 0, v35, v36
	s_waitcnt vmcnt(4)
	v_mul_f16_sdwa v68, v0, v67 dst_sel:DWORD dst_unused:UNUSED_PAD src0_sel:WORD_1 src1_sel:DWORD
	v_fma_f16 v75, v0, v65, v68
	v_mul_f16_sdwa v65, v0, v65 dst_sel:DWORD dst_unused:UNUSED_PAD src0_sel:WORD_1 src1_sel:DWORD
	v_fma_f16 v76, v0, v67, -v65
	global_load_dwordx4 v[67:70], v61, s[8:9] offset:96
	v_lshrrev_b32_e32 v0, 16, v64
	v_mul_f16_sdwa v65, v1, v0 dst_sel:DWORD dst_unused:UNUSED_PAD src0_sel:WORD_1 src1_sel:DWORD
	v_fma_f16 v77, v1, v64, v65
	v_mul_f16_sdwa v64, v1, v64 dst_sel:DWORD dst_unused:UNUSED_PAD src0_sel:WORD_1 src1_sel:DWORD
	v_fma_f16 v78, v1, v0, -v64
	ds_read2_b32 v[0:1], v31 offset0:48 offset1:148
	v_mul_f16_sdwa v64, v63, v2 dst_sel:DWORD dst_unused:UNUSED_PAD src0_sel:DWORD src1_sel:WORD_1
	v_fma_f16 v79, v2, v62, v64
	v_mul_f16_sdwa v62, v2, v62 dst_sel:DWORD dst_unused:UNUSED_PAD src0_sel:WORD_1 src1_sel:DWORD
	v_fma_f16 v80, v63, v2, -v62
	s_waitcnt lgkmcnt(0)
	v_lshrrev_b32_e32 v2, 16, v0
	v_mul_f16_sdwa v62, v0, v3 dst_sel:DWORD dst_unused:UNUSED_PAD src0_sel:DWORD src1_sel:WORD_1
	v_fma_f16 v81, v2, v3, -v62
	global_load_dwordx4 v[62:65], v60, s[8:9] offset:96
	v_mul_f16_sdwa v2, v2, v3 dst_sel:DWORD dst_unused:UNUSED_PAD src0_sel:DWORD src1_sel:WORD_1
	global_load_dword v60, v60, s[8:9] offset:112
	v_fma_f16 v82, v0, v3, v2
	ds_read2_b32 v[2:3], v55 offset0:144 offset1:244
	v_lshrrev_b32_e32 v0, 16, v1
	s_waitcnt vmcnt(6)
	v_mul_f16_sdwa v58, v0, v7 dst_sel:DWORD dst_unused:UNUSED_PAD src0_sel:DWORD src1_sel:WORD_1
	v_fma_f16 v84, v1, v7, v58
	v_mul_f16_sdwa v1, v1, v7 dst_sel:DWORD dst_unused:UNUSED_PAD src0_sel:DWORD src1_sel:WORD_1
	v_add_u32_e32 v58, 0xa00, v40
	v_fma_f16 v85, v0, v7, -v1
	s_waitcnt lgkmcnt(0)
	v_lshrrev_b32_e32 v0, 16, v2
	ds_read2_b32 v[71:72], v58 offset0:60 offset1:160
	v_mul_f16_sdwa v1, v2, v4 dst_sel:DWORD dst_unused:UNUSED_PAD src0_sel:DWORD src1_sel:WORD_1
	v_fma_f16 v86, v0, v4, -v1
	v_mul_f16_sdwa v0, v0, v4 dst_sel:DWORD dst_unused:UNUSED_PAD src0_sel:DWORD src1_sel:WORD_1
	v_fma_f16 v87, v2, v4, v0
	ds_read2_b32 v[1:2], v54 offset0:104 offset1:204
	s_waitcnt lgkmcnt(1)
	v_lshrrev_b32_e32 v0, 16, v71
	v_mul_f16_sdwa v4, v71, v5 dst_sel:DWORD dst_unused:UNUSED_PAD src0_sel:DWORD src1_sel:WORD_1
	v_fma_f16 v88, v0, v5, -v4
	v_mul_f16_sdwa v0, v0, v5 dst_sel:DWORD dst_unused:UNUSED_PAD src0_sel:DWORD src1_sel:WORD_1
	v_fma_f16 v71, v71, v5, v0
	s_waitcnt lgkmcnt(0)
	v_lshrrev_b32_e32 v0, 16, v1
	v_mul_f16_sdwa v4, v1, v6 dst_sel:DWORD dst_unused:UNUSED_PAD src0_sel:DWORD src1_sel:WORD_1
	v_fma_f16 v89, v0, v6, -v4
	v_mul_f16_sdwa v0, v0, v6 dst_sel:DWORD dst_unused:UNUSED_PAD src0_sel:DWORD src1_sel:WORD_1
	v_fma_f16 v90, v1, v6, v0
	v_lshrrev_b32_e32 v0, 16, v3
	s_waitcnt vmcnt(5)
	v_mul_f16_sdwa v1, v0, v8 dst_sel:DWORD dst_unused:UNUSED_PAD src0_sel:DWORD src1_sel:WORD_1
	v_fma_f16 v1, v3, v8, v1
	v_mul_f16_sdwa v3, v3, v8 dst_sel:DWORD dst_unused:UNUSED_PAD src0_sel:DWORD src1_sel:WORD_1
	v_fma_f16 v0, v0, v8, -v3
	v_lshrrev_b32_e32 v3, 16, v72
	ds_read2_b32 v[5:6], v44 offset0:120 offset1:220
	v_mul_f16_sdwa v4, v3, v9 dst_sel:DWORD dst_unused:UNUSED_PAD src0_sel:DWORD src1_sel:WORD_1
	v_fma_f16 v91, v72, v9, v4
	v_mul_f16_sdwa v4, v72, v9 dst_sel:DWORD dst_unused:UNUSED_PAD src0_sel:DWORD src1_sel:WORD_1
	v_lshrrev_b32_e32 v7, 16, v2
	v_fma_f16 v4, v3, v9, -v4
	v_mul_f16_sdwa v3, v7, v10 dst_sel:DWORD dst_unused:UNUSED_PAD src0_sel:DWORD src1_sel:WORD_1
	v_fma_f16 v3, v2, v10, v3
	v_mul_f16_sdwa v2, v2, v10 dst_sel:DWORD dst_unused:UNUSED_PAD src0_sel:DWORD src1_sel:WORD_1
	v_fma_f16 v2, v7, v10, -v2
	s_waitcnt lgkmcnt(0)
	v_lshrrev_b32_e32 v7, 16, v5
	v_mul_f16_sdwa v8, v5, v11 dst_sel:DWORD dst_unused:UNUSED_PAD src0_sel:DWORD src1_sel:WORD_1
	v_fma_f16 v72, v7, v11, -v8
	v_mul_f16_sdwa v7, v7, v11 dst_sel:DWORD dst_unused:UNUSED_PAD src0_sel:DWORD src1_sel:WORD_1
	v_fma_f16 v11, v5, v11, v7
	ds_read2_b32 v[7:8], v29 offset0:8 offset1:108
	v_lshrrev_b32_e32 v5, 16, v6
	s_waitcnt vmcnt(4)
	v_mul_f16_sdwa v9, v5, v12 dst_sel:DWORD dst_unused:UNUSED_PAD src0_sel:DWORD src1_sel:WORD_1
	v_fma_f16 v92, v6, v12, v9
	v_mul_f16_sdwa v6, v6, v12 dst_sel:DWORD dst_unused:UNUSED_PAD src0_sel:DWORD src1_sel:WORD_1
	v_fma_f16 v12, v5, v12, -v6
	s_waitcnt lgkmcnt(0)
	v_lshrrev_b32_e32 v9, 16, v7
	ds_read2_b32 v[5:6], v43 offset0:80 offset1:180
	v_mul_f16_sdwa v10, v7, v13 dst_sel:DWORD dst_unused:UNUSED_PAD src0_sel:DWORD src1_sel:WORD_1
	v_fma_f16 v93, v9, v13, -v10
	v_mul_f16_sdwa v9, v9, v13 dst_sel:DWORD dst_unused:UNUSED_PAD src0_sel:DWORD src1_sel:WORD_1
	v_fma_f16 v13, v7, v13, v9
	ds_read2_b32 v[9:10], v21 offset0:96 offset1:196
	s_waitcnt lgkmcnt(1)
	v_lshrrev_b32_e32 v7, 16, v6
	v_mul_f16_sdwa v94, v6, v14 dst_sel:DWORD dst_unused:UNUSED_PAD src0_sel:DWORD src1_sel:WORD_1
	v_fma_f16 v94, v7, v14, -v94
	v_mul_f16_sdwa v7, v7, v14 dst_sel:DWORD dst_unused:UNUSED_PAD src0_sel:DWORD src1_sel:WORD_1
	v_fma_f16 v14, v6, v14, v7
	s_waitcnt lgkmcnt(0)
	v_lshrrev_b32_e32 v6, 16, v9
	v_mul_f16_sdwa v7, v9, v15 dst_sel:DWORD dst_unused:UNUSED_PAD src0_sel:DWORD src1_sel:WORD_1
	v_fma_f16 v95, v6, v15, -v7
	v_mul_f16_sdwa v6, v6, v15 dst_sel:DWORD dst_unused:UNUSED_PAD src0_sel:DWORD src1_sel:WORD_1
	v_fma_f16 v15, v9, v15, v6
	v_lshrrev_b32_e32 v6, 16, v8
	s_waitcnt vmcnt(2)
	v_mul_f16_sdwa v7, v6, v68 dst_sel:DWORD dst_unused:UNUSED_PAD src0_sel:DWORD src1_sel:WORD_1
	v_fma_f16 v96, v8, v68, v7
	v_mul_f16_sdwa v7, v8, v68 dst_sel:DWORD dst_unused:UNUSED_PAD src0_sel:DWORD src1_sel:WORD_1
	v_lshrrev_b32_e32 v8, 16, v10
	v_fma_f16 v68, v6, v68, -v7
	ds_read2_b32 v[6:7], v53 offset0:64 offset1:164
	v_mul_f16_sdwa v9, v8, v70 dst_sel:DWORD dst_unused:UNUSED_PAD src0_sel:DWORD src1_sel:WORD_1
	v_fma_f16 v97, v10, v70, v9
	v_mul_f16_sdwa v9, v10, v70 dst_sel:DWORD dst_unused:UNUSED_PAD src0_sel:DWORD src1_sel:WORD_1
	v_fma_f16 v10, v8, v70, -v9
	ds_read2_b32 v[8:9], v52 offset0:152 offset1:252
	s_waitcnt lgkmcnt(1)
	v_lshrrev_b32_e32 v70, 16, v6
	v_mul_f16_sdwa v98, v6, v67 dst_sel:DWORD dst_unused:UNUSED_PAD src0_sel:DWORD src1_sel:WORD_1
	v_fma_f16 v98, v70, v67, -v98
	v_mul_f16_sdwa v70, v70, v67 dst_sel:DWORD dst_unused:UNUSED_PAD src0_sel:DWORD src1_sel:WORD_1
	v_fma_f16 v67, v6, v67, v70
	s_waitcnt lgkmcnt(0)
	v_lshrrev_b32_e32 v6, 16, v8
	v_mul_f16_sdwa v70, v8, v69 dst_sel:DWORD dst_unused:UNUSED_PAD src0_sel:DWORD src1_sel:WORD_1
	v_fma_f16 v70, v6, v69, -v70
	v_mul_f16_sdwa v6, v6, v69 dst_sel:DWORD dst_unused:UNUSED_PAD src0_sel:DWORD src1_sel:WORD_1
	v_fma_f16 v8, v8, v69, v6
	v_lshrrev_b32_e32 v6, 16, v7
	s_waitcnt vmcnt(1)
	v_mul_f16_sdwa v69, v6, v62 dst_sel:DWORD dst_unused:UNUSED_PAD src0_sel:DWORD src1_sel:WORD_1
	v_fma_f16 v69, v7, v62, v69
	v_mul_f16_sdwa v7, v7, v62 dst_sel:DWORD dst_unused:UNUSED_PAD src0_sel:DWORD src1_sel:WORD_1
	global_load_dword v61, v61, s[8:9] offset:112
	v_fma_f16 v7, v6, v62, -v7
	v_lshrrev_b32_e32 v6, 16, v5
	v_mul_f16_sdwa v62, v6, v63 dst_sel:DWORD dst_unused:UNUSED_PAD src0_sel:DWORD src1_sel:WORD_1
	v_fma_f16 v62, v5, v63, v62
	v_mul_f16_sdwa v5, v5, v63 dst_sel:DWORD dst_unused:UNUSED_PAD src0_sel:DWORD src1_sel:WORD_1
	v_fma_f16 v63, v6, v63, -v5
	ds_read2_b32 v[5:6], v41 offset0:40 offset1:140
	v_lshrrev_b32_e32 v99, 16, v9
	v_mul_f16_sdwa v100, v99, v64 dst_sel:DWORD dst_unused:UNUSED_PAD src0_sel:DWORD src1_sel:WORD_1
	v_fma_f16 v100, v9, v64, v100
	v_mul_f16_sdwa v9, v9, v64 dst_sel:DWORD dst_unused:UNUSED_PAD src0_sel:DWORD src1_sel:WORD_1
	v_fma_f16 v9, v99, v64, -v9
	s_waitcnt lgkmcnt(0)
	v_lshrrev_b32_e32 v64, 16, v5
	v_mul_f16_sdwa v99, v5, v65 dst_sel:DWORD dst_unused:UNUSED_PAD src0_sel:DWORD src1_sel:WORD_1
	v_fma_f16 v99, v64, v65, -v99
	v_mul_f16_sdwa v64, v64, v65 dst_sel:DWORD dst_unused:UNUSED_PAD src0_sel:DWORD src1_sel:WORD_1
	v_fma_f16 v64, v5, v65, v64
	v_lshrrev_b32_e32 v5, 16, v6
	v_mul_f16_sdwa v65, v5, v83 dst_sel:DWORD dst_unused:UNUSED_PAD src0_sel:DWORD src1_sel:WORD_1
	v_fma_f16 v65, v6, v83, v65
	v_mul_f16_sdwa v6, v6, v83 dst_sel:DWORD dst_unused:UNUSED_PAD src0_sel:DWORD src1_sel:WORD_1
	v_fma_f16 v83, v5, v83, -v6
	v_sub_f16_e32 v5, v77, v82
	v_sub_f16_e32 v6, v15, v13
	v_add_f16_e32 v101, v5, v6
	v_sub_f16_e32 v5, v78, v81
	v_sub_f16_e32 v6, v95, v93
	v_add_f16_e32 v102, v5, v6
	;; [unrolled: 3-line block ×4, first 2 shown]
	v_add_f16_e32 v6, v12, v94
	v_add_f16_e32 v5, v92, v14
	v_fma_f16 v108, v6, -0.5, v76
	v_sub_f16_e32 v109, v79, v65
	v_fma_f16 v105, v5, -0.5, v75
	v_sub_f16_e32 v106, v80, v83
	v_fma_f16 v6, v109, s6, v108
	v_sub_f16_e32 v110, v92, v14
	v_fma_f16 v5, v106, s10, v105
	;; [unrolled: 2-line block ×3, first 2 shown]
	v_fma_f16 v5, v107, s7, v5
	v_fma_f16 v6, v104, s5, v6
	;; [unrolled: 1-line block ×3, first 2 shown]
	v_mul_f16_e32 v111, 0xb8b4, v6
	v_mul_f16_e32 v6, 0x3a79, v6
	v_fma_f16 v111, v5, s11, v111
	v_fma_f16 v112, v5, s4, v6
	v_mul_u32_u24_e32 v5, 0x4b0, v39
	v_lshlrev_b32_sdwa v6, v34, v59 dst_sel:DWORD dst_unused:UNUSED_PAD src0_sel:DWORD src1_sel:BYTE_0
	v_add3_u32 v39, 0, v5, v6
	v_add_f16_e32 v5, v74, v77
	v_add_f16_e32 v5, v5, v82
	;; [unrolled: 1-line block ×18, first 2 shown]
	v_pack_b32_f16 v117, v5, v6
	v_add_f16_e32 v5, v82, v13
	v_fma_f16 v118, v5, -0.5, v74
	v_sub_f16_e32 v119, v78, v95
	v_fma_f16 v5, v119, s10, v118
	v_sub_f16_e32 v120, v81, v93
	v_fma_f16 v5, v120, s7, v5
	v_fma_f16 v121, v101, s5, v5
	v_add_f16_e32 v5, v81, v93
	v_fma_f16 v122, v5, -0.5, v113
	v_sub_f16_e32 v123, v77, v15
	v_fma_f16 v5, v123, s6, v122
	v_sub_f16_e32 v124, v82, v13
	v_fma_f16 v5, v124, s4, v5
	v_fma_f16 v125, v102, s5, v5
	v_add_f16_e32 v5, v121, v111
	v_add_f16_e32 v6, v125, v112
	v_pack_b32_f16 v126, v5, v6
	ds_read2_b32 v[5:6], v51 offset0:112 offset1:212
	s_waitcnt vmcnt(0) lgkmcnt(0)
	s_barrier
	ds_write2_b32 v39, v117, v126 offset1:30
	v_add_f16_e32 v117, v77, v15
	v_fma_f16 v74, v117, -0.5, v74
	v_sub_f16_e32 v77, v82, v77
	v_sub_f16_e32 v13, v13, v15
	v_fma_f16 v15, v120, s6, v74
	v_fma_f16 v74, v120, s10, v74
	v_add_f16_e32 v13, v77, v13
	v_fma_f16 v15, v119, s7, v15
	v_fma_f16 v74, v119, s4, v74
	;; [unrolled: 1-line block ×4, first 2 shown]
	v_add_f16_e32 v74, v78, v95
	v_fma_f16 v74, v74, -0.5, v113
	v_sub_f16_e32 v77, v81, v78
	v_sub_f16_e32 v78, v93, v95
	v_add_f16_e32 v77, v77, v78
	v_fma_f16 v78, v124, s10, v74
	v_fma_f16 v74, v124, s6, v74
	;; [unrolled: 1-line block ×6, first 2 shown]
	v_add_f16_e32 v77, v79, v65
	v_fma_f16 v75, v77, -0.5, v75
	v_sub_f16_e32 v77, v92, v79
	v_sub_f16_e32 v14, v14, v65
	v_fma_f16 v65, v107, s6, v75
	v_fma_f16 v75, v107, s10, v75
	v_add_f16_e32 v14, v77, v14
	v_fma_f16 v65, v106, s7, v65
	v_fma_f16 v75, v106, s4, v75
	;; [unrolled: 1-line block ×4, first 2 shown]
	v_add_f16_e32 v75, v80, v83
	v_fma_f16 v75, v75, -0.5, v76
	v_sub_f16_e32 v12, v12, v80
	v_sub_f16_e32 v76, v94, v83
	v_add_f16_e32 v12, v12, v76
	v_fma_f16 v76, v110, s10, v75
	v_fma_f16 v76, v109, s4, v76
	;; [unrolled: 1-line block ×6, first 2 shown]
	v_mul_f16_e32 v75, 0xbb9c, v76
	v_mul_f16_e32 v76, 0x34f2, v76
	v_fma_f16 v75, v65, s5, v75
	v_fma_f16 v65, v65, s6, v76
	v_mul_f16_e32 v76, 0xbb9c, v12
	v_mul_f16_e32 v12, 0xb4f2, v12
	v_fma_f16 v76, v14, s12, v76
	v_fma_f16 v12, v14, s6, v12
	v_add_f16_e32 v14, v15, v75
	v_add_f16_e32 v77, v78, v65
	v_pack_b32_f16 v14, v14, v77
	v_add_f16_e32 v77, v13, v76
	v_add_f16_e32 v79, v74, v12
	v_fma_f16 v80, v109, s10, v108
	v_pack_b32_f16 v77, v77, v79
	v_fma_f16 v79, v106, s6, v105
	v_fma_f16 v80, v110, s7, v80
	ds_write2_b32 v39, v14, v77 offset0:60 offset1:90
	v_fma_f16 v14, v119, s6, v118
	v_fma_f16 v77, v123, s10, v122
	v_fma_f16 v79, v107, s4, v79
	v_fma_f16 v80, v104, s5, v80
	v_fma_f16 v14, v120, s4, v14
	v_fma_f16 v77, v124, s7, v77
	v_fma_f16 v79, v103, s5, v79
	v_mul_f16_e32 v81, 0xb8b4, v80
	v_mul_f16_e32 v80, 0xba79, v80
	v_fma_f16 v14, v101, s5, v14
	v_fma_f16 v77, v102, s5, v77
	v_fma_f16 v81, v79, s13, v81
	v_fma_f16 v79, v79, s4, v80
	v_sub_f16_e32 v59, v59, v115
	v_sub_f16_e32 v80, v114, v116
	v_add_f16_e32 v82, v14, v81
	v_add_f16_e32 v83, v77, v79
	v_pack_b32_f16 v82, v82, v83
	v_pack_b32_f16 v59, v59, v80
	ds_write2_b32 v39, v82, v59 offset0:120 offset1:150
	v_sub_f16_e32 v59, v121, v111
	v_sub_f16_e32 v15, v15, v75
	;; [unrolled: 1-line block ×4, first 2 shown]
	v_pack_b32_f16 v59, v59, v75
	v_pack_b32_f16 v15, v15, v65
	ds_write2_b32 v39, v59, v15 offset0:180 offset1:210
	v_sub_f16_e32 v13, v13, v76
	v_sub_f16_e32 v14, v14, v81
	;; [unrolled: 1-line block ×4, first 2 shown]
	v_pack_b32_f16 v12, v13, v12
	v_pack_b32_f16 v13, v14, v15
	v_add_u32_e32 v14, 0x200, v39
	ds_write2_b32 v14, v12, v13 offset0:112 offset1:142
	v_lshrrev_b32_e32 v12, 16, v5
	v_mul_f16_sdwa v13, v5, v61 dst_sel:DWORD dst_unused:UNUSED_PAD src0_sel:DWORD src1_sel:WORD_1
	v_fma_f16 v13, v12, v61, -v13
	v_mul_f16_sdwa v12, v12, v61 dst_sel:DWORD dst_unused:UNUSED_PAD src0_sel:DWORD src1_sel:WORD_1
	v_fma_f16 v5, v5, v61, v12
	v_sub_f16_e32 v12, v71, v84
	v_sub_f16_e32 v14, v97, v96
	v_add_f16_e32 v12, v12, v14
	v_sub_f16_e32 v14, v88, v85
	v_sub_f16_e32 v15, v10, v68
	v_add_f16_e32 v14, v14, v15
	;; [unrolled: 3-line block ×4, first 2 shown]
	v_add_f16_e32 v39, v39, v59
	v_add_f16_e32 v59, v67, v8
	v_fma_f16 v75, v75, -0.5, v86
	v_sub_f16_e32 v76, v90, v5
	v_fma_f16 v59, v59, -0.5, v87
	v_sub_f16_e32 v61, v89, v13
	v_fma_f16 v77, v76, s6, v75
	v_sub_f16_e32 v78, v67, v8
	v_fma_f16 v65, v61, s10, v59
	;; [unrolled: 2-line block ×3, first 2 shown]
	v_fma_f16 v65, v74, s7, v65
	v_fma_f16 v77, v39, s5, v77
	;; [unrolled: 1-line block ×3, first 2 shown]
	v_mul_f16_e32 v79, 0xb8b4, v77
	v_mul_f16_e32 v77, 0x3a79, v77
	v_lshlrev_b32_sdwa v34, v34, v38 dst_sel:DWORD dst_unused:UNUSED_PAD src0_sel:DWORD src1_sel:BYTE_0
	v_lshrrev_b32_e32 v38, 16, v73
	v_fma_f16 v79, v65, s11, v79
	v_fma_f16 v65, v65, s4, v77
	v_add3_u32 v34, 0, v37, v34
	v_add_f16_e32 v37, v73, v71
	v_add_f16_e32 v77, v38, v88
	;; [unrolled: 1-line block ×18, first 2 shown]
	v_pack_b32_f16 v82, v82, v83
	v_add_f16_e32 v83, v84, v96
	v_add_f16_e32 v95, v85, v68
	v_fma_f16 v83, v83, -0.5, v73
	v_sub_f16_e32 v92, v88, v10
	v_fma_f16 v95, v95, -0.5, v38
	v_sub_f16_e32 v101, v71, v97
	v_fma_f16 v93, v92, s10, v83
	v_sub_f16_e32 v94, v85, v68
	v_fma_f16 v102, v101, s6, v95
	;; [unrolled: 2-line block ×3, first 2 shown]
	v_fma_f16 v102, v103, s4, v102
	v_fma_f16 v93, v12, s5, v93
	;; [unrolled: 1-line block ×3, first 2 shown]
	v_add_f16_e32 v104, v93, v79
	v_add_f16_e32 v105, v102, v65
	v_pack_b32_f16 v104, v104, v105
	ds_write2_b32 v34, v82, v104 offset1:30
	v_add_f16_e32 v82, v71, v97
	v_fma_f16 v73, v82, -0.5, v73
	v_sub_f16_e32 v71, v84, v71
	v_sub_f16_e32 v82, v96, v97
	v_add_f16_e32 v71, v71, v82
	v_fma_f16 v82, v94, s6, v73
	v_fma_f16 v73, v94, s10, v73
	;; [unrolled: 1-line block ×6, first 2 shown]
	v_add_f16_e32 v73, v88, v10
	v_fma_f16 v38, v73, -0.5, v38
	v_sub_f16_e32 v73, v85, v88
	v_sub_f16_e32 v10, v68, v10
	v_fma_f16 v68, v103, s10, v38
	v_fma_f16 v38, v103, s6, v38
	v_add_f16_e32 v10, v73, v10
	v_fma_f16 v68, v101, s4, v68
	v_fma_f16 v38, v101, s7, v38
	;; [unrolled: 1-line block ×4, first 2 shown]
	v_add_f16_e32 v38, v90, v5
	v_fma_f16 v38, v38, -0.5, v87
	v_sub_f16_e32 v67, v67, v90
	v_sub_f16_e32 v5, v8, v5
	v_fma_f16 v8, v74, s6, v38
	v_fma_f16 v38, v74, s10, v38
	v_add_f16_e32 v5, v67, v5
	v_fma_f16 v8, v61, s7, v8
	v_fma_f16 v38, v61, s4, v38
	;; [unrolled: 1-line block ×4, first 2 shown]
	v_add_f16_e32 v38, v89, v13
	v_fma_f16 v38, v38, -0.5, v86
	v_sub_f16_e32 v67, v98, v89
	v_sub_f16_e32 v13, v70, v13
	v_add_f16_e32 v13, v67, v13
	v_fma_f16 v67, v78, s10, v38
	v_fma_f16 v67, v76, s4, v67
	;; [unrolled: 1-line block ×6, first 2 shown]
	v_mul_f16_e32 v38, 0xbb9c, v67
	v_mul_f16_e32 v67, 0x34f2, v67
	v_fma_f16 v38, v8, s5, v38
	v_fma_f16 v8, v8, s6, v67
	v_mul_f16_e32 v67, 0xbb9c, v13
	v_mul_f16_e32 v13, 0xb4f2, v13
	v_fma_f16 v67, v5, s12, v67
	v_fma_f16 v5, v5, s6, v13
	v_add_f16_e32 v13, v82, v38
	v_add_f16_e32 v70, v68, v8
	v_pack_b32_f16 v13, v13, v70
	v_add_f16_e32 v70, v71, v67
	v_add_f16_e32 v73, v10, v5
	v_pack_b32_f16 v70, v70, v73
	ds_write2_b32 v34, v13, v70 offset0:60 offset1:90
	v_fma_f16 v13, v92, s6, v83
	v_fma_f16 v13, v94, s4, v13
	;; [unrolled: 1-line block ×12, first 2 shown]
	v_mul_f16_e32 v39, 0xb8b4, v15
	v_mul_f16_e32 v15, 0xba79, v15
	v_fma_f16 v39, v14, s13, v39
	v_fma_f16 v14, v14, s4, v15
	v_sub_f16_e32 v15, v37, v80
	v_sub_f16_e32 v37, v77, v81
	v_add_f16_e32 v59, v12, v39
	v_add_f16_e32 v61, v13, v14
	v_pack_b32_f16 v59, v59, v61
	v_pack_b32_f16 v15, v15, v37
	ds_write2_b32 v34, v59, v15 offset0:120 offset1:150
	v_sub_f16_e32 v15, v93, v79
	v_sub_f16_e32 v37, v82, v38
	;; [unrolled: 1-line block ×4, first 2 shown]
	v_pack_b32_f16 v15, v15, v38
	v_pack_b32_f16 v8, v37, v8
	ds_write2_b32 v34, v15, v8 offset0:180 offset1:210
	v_sub_f16_e32 v8, v71, v67
	v_sub_f16_e32 v12, v12, v39
	;; [unrolled: 1-line block ×4, first 2 shown]
	v_pack_b32_f16 v5, v8, v5
	v_pack_b32_f16 v8, v12, v10
	v_add_u32_e32 v10, 0x200, v34
	ds_write2_b32 v10, v5, v8 offset0:112 offset1:142
	v_lshrrev_b32_e32 v5, 16, v6
	v_mul_f16_sdwa v8, v5, v60 dst_sel:DWORD dst_unused:UNUSED_PAD src0_sel:DWORD src1_sel:WORD_1
	v_fma_f16 v8, v6, v60, v8
	v_mul_f16_sdwa v6, v6, v60 dst_sel:DWORD dst_unused:UNUSED_PAD src0_sel:DWORD src1_sel:WORD_1
	v_fma_f16 v5, v5, v60, -v6
	v_sub_f16_e32 v6, v91, v11
	v_sub_f16_e32 v10, v64, v62
	v_add_f16_e32 v6, v6, v10
	v_sub_f16_e32 v10, v4, v72
	v_sub_f16_e32 v12, v99, v63
	v_add_f16_e32 v10, v10, v12
	;; [unrolled: 3-line block ×4, first 2 shown]
	v_add_f16_e32 v13, v13, v14
	v_add_f16_e32 v14, v69, v100
	v_fma_f16 v38, v38, -0.5, v0
	v_sub_f16_e32 v39, v3, v8
	v_fma_f16 v14, v14, -0.5, v1
	v_sub_f16_e32 v15, v2, v5
	v_fma_f16 v59, v39, s6, v38
	v_sub_f16_e32 v60, v69, v100
	v_fma_f16 v34, v15, s10, v14
	;; [unrolled: 2-line block ×3, first 2 shown]
	v_fma_f16 v34, v37, s7, v34
	v_fma_f16 v59, v13, s5, v59
	;; [unrolled: 1-line block ×3, first 2 shown]
	v_mul_f16_e32 v61, 0xb8b4, v59
	v_mul_f16_e32 v59, 0x3a79, v59
	v_fma_f16 v61, v34, s11, v61
	v_fma_f16 v34, v34, s4, v59
	v_lshrrev_b32_e32 v59, 16, v66
	v_add_f16_e32 v36, v66, v91
	v_add_f16_e32 v65, v59, v4
	;; [unrolled: 1-line block ×18, first 2 shown]
	v_pack_b32_f16 v70, v70, v71
	v_add_f16_e32 v71, v11, v62
	v_add_f16_e32 v76, v72, v63
	v_fma_f16 v71, v71, -0.5, v66
	v_sub_f16_e32 v73, v4, v99
	v_fma_f16 v76, v76, -0.5, v59
	v_sub_f16_e32 v77, v91, v64
	v_fma_f16 v74, v73, s10, v71
	v_sub_f16_e32 v75, v72, v63
	v_fma_f16 v78, v77, s6, v76
	v_sub_f16_e32 v79, v11, v62
	v_fma_f16 v74, v75, s7, v74
	v_fma_f16 v78, v79, s4, v78
	v_fma_f16 v74, v6, s5, v74
	;; [unrolled: 1-line block ×3, first 2 shown]
	v_add_f16_e32 v80, v74, v61
	v_add_f16_e32 v81, v78, v34
	v_pack_b32_f16 v80, v80, v81
	ds_write2_b32 v35, v70, v80 offset1:30
	v_add_f16_e32 v70, v91, v64
	v_fma_f16 v66, v70, -0.5, v66
	v_sub_f16_e32 v11, v11, v91
	v_sub_f16_e32 v62, v62, v64
	v_add_f16_e32 v11, v11, v62
	v_fma_f16 v62, v75, s6, v66
	v_fma_f16 v64, v75, s10, v66
	v_fma_f16 v62, v73, s7, v62
	v_fma_f16 v64, v73, s4, v64
	v_fma_f16 v62, v11, s5, v62
	v_fma_f16 v11, v11, s5, v64
	v_add_f16_e32 v64, v4, v99
	v_fma_f16 v59, v64, -0.5, v59
	v_sub_f16_e32 v4, v72, v4
	v_sub_f16_e32 v63, v63, v99
	v_add_f16_e32 v4, v4, v63
	v_fma_f16 v63, v79, s10, v59
	v_fma_f16 v59, v79, s6, v59
	v_fma_f16 v63, v77, s4, v63
	v_fma_f16 v59, v77, s7, v59
	v_fma_f16 v63, v4, s5, v63
	v_fma_f16 v4, v4, s5, v59
	;; [unrolled: 11-line block ×4, first 2 shown]
	v_mul_f16_e32 v2, 0xbb9c, v3
	v_mul_f16_e32 v3, 0x34f2, v3
	v_fma_f16 v2, v8, s5, v2
	v_fma_f16 v3, v8, s6, v3
	v_mul_f16_e32 v5, 0xbb9c, v0
	v_mul_f16_e32 v0, 0xb4f2, v0
	v_fma_f16 v5, v1, s12, v5
	v_fma_f16 v0, v1, s6, v0
	v_add_f16_e32 v1, v62, v2
	v_add_f16_e32 v7, v63, v3
	v_pack_b32_f16 v1, v1, v7
	v_add_f16_e32 v7, v11, v5
	v_add_f16_e32 v8, v4, v0
	v_pack_b32_f16 v7, v7, v8
	ds_write2_b32 v35, v1, v7 offset0:60 offset1:90
	v_fma_f16 v1, v73, s6, v71
	v_fma_f16 v8, v39, s10, v38
	;; [unrolled: 1-line block ×11, first 2 shown]
	v_mul_f16_e32 v9, 0xb8b4, v8
	v_mul_f16_e32 v8, 0xba79, v8
	v_fma_f16 v6, v10, s5, v6
	v_fma_f16 v9, v7, s13, v9
	;; [unrolled: 1-line block ×3, first 2 shown]
	v_sub_f16_e32 v8, v36, v67
	v_sub_f16_e32 v10, v65, v68
	v_add_f16_e32 v12, v1, v9
	v_add_f16_e32 v13, v6, v7
	v_pack_b32_f16 v12, v12, v13
	v_pack_b32_f16 v8, v8, v10
	ds_write2_b32 v35, v12, v8 offset0:120 offset1:150
	v_sub_f16_e32 v8, v74, v61
	v_sub_f16_e32 v2, v62, v2
	;; [unrolled: 1-line block ×4, first 2 shown]
	v_pack_b32_f16 v8, v8, v10
	v_pack_b32_f16 v2, v2, v3
	ds_write2_b32 v35, v8, v2 offset0:180 offset1:210
	v_sub_f16_e32 v2, v11, v5
	v_sub_f16_e32 v1, v1, v9
	;; [unrolled: 1-line block ×4, first 2 shown]
	v_pack_b32_f16 v0, v2, v0
	v_pack_b32_f16 v1, v1, v3
	v_add_u32_e32 v2, 0x200, v35
	ds_write2_b32 v2, v0, v1 offset0:112 offset1:142
	v_mul_u32_u24_e32 v0, 9, v16
	v_lshlrev_b32_e32 v59, 2, v0
	s_waitcnt lgkmcnt(0)
	s_barrier
	global_load_dwordx4 v[0:3], v59, s[8:9] offset:1160
	v_mul_i32_i24_e32 v34, 9, v20
	v_mov_b32_e32 v35, 0
	v_lshlrev_b64 v[4:5], 2, v[34:35]
	v_mov_b32_e32 v10, s9
	v_add_co_u32_e64 v36, s[0:1], s8, v4
	v_addc_co_u32_e64 v37, s[0:1], v10, v5, s[0:1]
	global_load_dwordx4 v[4:7], v[36:37], off offset:1160
	v_mul_i32_i24_e32 v34, 9, v33
	v_lshlrev_b64 v[8:9], 2, v[34:35]
	v_add_co_u32_e64 v38, s[0:1], s8, v8
	v_addc_co_u32_e64 v39, s[0:1], v10, v9, s[0:1]
	global_load_dwordx4 v[8:11], v[38:39], off offset:1160
	global_load_dwordx4 v[12:15], v59, s[8:9] offset:1176
	ds_read_b32 v62, v49
	ds_read_b32 v61, v46
	;; [unrolled: 1-line block ×6, first 2 shown]
	s_waitcnt lgkmcnt(5)
	v_lshrrev_b32_e32 v64, 16, v62
	s_waitcnt lgkmcnt(3)
	v_lshrrev_b32_e32 v68, 16, v34
	v_cmp_ne_u32_e64 s[0:1], 0, v16
	s_waitcnt vmcnt(3)
	v_mul_f16_sdwa v65, v0, v64 dst_sel:DWORD dst_unused:UNUSED_PAD src0_sel:WORD_1 src1_sel:DWORD
	v_fma_f16 v73, v0, v62, v65
	v_mul_f16_sdwa v62, v0, v62 dst_sel:DWORD dst_unused:UNUSED_PAD src0_sel:WORD_1 src1_sel:DWORD
	v_fma_f16 v62, v0, v64, -v62
	v_lshrrev_b32_e32 v0, 16, v61
	v_mul_f16_sdwa v64, v1, v0 dst_sel:DWORD dst_unused:UNUSED_PAD src0_sel:WORD_1 src1_sel:DWORD
	v_fma_f16 v74, v1, v61, v64
	v_mul_f16_sdwa v61, v1, v61 dst_sel:DWORD dst_unused:UNUSED_PAD src0_sel:WORD_1 src1_sel:DWORD
	v_fma_f16 v61, v1, v0, -v61
	ds_read2_b32 v[0:1], v31 offset0:48 offset1:148
	global_load_dwordx4 v[64:67], v[36:37], off offset:1176
	v_mul_f16_sdwa v31, v2, v68 dst_sel:DWORD dst_unused:UNUSED_PAD src0_sel:WORD_1 src1_sel:DWORD
	v_fma_f16 v31, v2, v34, v31
	v_mul_f16_sdwa v34, v2, v34 dst_sel:DWORD dst_unused:UNUSED_PAD src0_sel:WORD_1 src1_sel:DWORD
	v_fma_f16 v34, v2, v68, -v34
	s_waitcnt lgkmcnt(0)
	v_lshrrev_b32_e32 v2, 16, v0
	v_mul_f16_sdwa v68, v0, v3 dst_sel:DWORD dst_unused:UNUSED_PAD src0_sel:DWORD src1_sel:WORD_1
	v_fma_f16 v75, v2, v3, -v68
	v_mul_f16_sdwa v2, v2, v3 dst_sel:DWORD dst_unused:UNUSED_PAD src0_sel:DWORD src1_sel:WORD_1
	v_fma_f16 v76, v0, v3, v2
	ds_read2_b32 v[2:3], v55 offset0:144 offset1:244
	v_lshrrev_b32_e32 v0, 16, v1
	s_waitcnt vmcnt(3)
	v_mul_f16_sdwa v55, v0, v7 dst_sel:DWORD dst_unused:UNUSED_PAD src0_sel:DWORD src1_sel:WORD_1
	v_fma_f16 v77, v1, v7, v55
	v_mul_f16_sdwa v1, v1, v7 dst_sel:DWORD dst_unused:UNUSED_PAD src0_sel:DWORD src1_sel:WORD_1
	v_fma_f16 v78, v0, v7, -v1
	ds_read2_b32 v[0:1], v58 offset0:60 offset1:160
	s_waitcnt lgkmcnt(1)
	v_lshrrev_b32_e32 v7, 16, v2
	v_mul_f16_sdwa v55, v2, v4 dst_sel:DWORD dst_unused:UNUSED_PAD src0_sel:DWORD src1_sel:WORD_1
	v_fma_f16 v58, v7, v4, -v55
	global_load_dwordx4 v[68:71], v[38:39], off offset:1176
	ds_read2_b32 v[54:55], v54 offset0:104 offset1:204
	v_mul_f16_sdwa v7, v7, v4 dst_sel:DWORD dst_unused:UNUSED_PAD src0_sel:DWORD src1_sel:WORD_1
	v_fma_f16 v79, v2, v4, v7
	s_waitcnt lgkmcnt(1)
	v_lshrrev_b32_e32 v2, 16, v0
	v_mul_f16_sdwa v4, v0, v5 dst_sel:DWORD dst_unused:UNUSED_PAD src0_sel:DWORD src1_sel:WORD_1
	v_fma_f16 v80, v2, v5, -v4
	v_mul_f16_sdwa v2, v2, v5 dst_sel:DWORD dst_unused:UNUSED_PAD src0_sel:DWORD src1_sel:WORD_1
	v_fma_f16 v81, v0, v5, v2
	s_waitcnt lgkmcnt(0)
	v_lshrrev_b32_e32 v0, 16, v54
	v_mul_f16_sdwa v2, v54, v6 dst_sel:DWORD dst_unused:UNUSED_PAD src0_sel:DWORD src1_sel:WORD_1
	v_fma_f16 v82, v0, v6, -v2
	v_mul_f16_sdwa v0, v0, v6 dst_sel:DWORD dst_unused:UNUSED_PAD src0_sel:DWORD src1_sel:WORD_1
	v_fma_f16 v54, v54, v6, v0
	v_lshrrev_b32_e32 v0, 16, v3
	s_waitcnt vmcnt(3)
	v_mul_f16_sdwa v2, v0, v8 dst_sel:DWORD dst_unused:UNUSED_PAD src0_sel:DWORD src1_sel:WORD_1
	v_fma_f16 v2, v3, v8, v2
	v_mul_f16_sdwa v3, v3, v8 dst_sel:DWORD dst_unused:UNUSED_PAD src0_sel:DWORD src1_sel:WORD_1
	v_fma_f16 v0, v0, v8, -v3
	v_lshrrev_b32_e32 v3, 16, v1
	v_mul_f16_sdwa v4, v3, v9 dst_sel:DWORD dst_unused:UNUSED_PAD src0_sel:DWORD src1_sel:WORD_1
	v_fma_f16 v83, v1, v9, v4
	v_mul_f16_sdwa v1, v1, v9 dst_sel:DWORD dst_unused:UNUSED_PAD src0_sel:DWORD src1_sel:WORD_1
	v_fma_f16 v84, v3, v9, -v1
	v_lshrrev_b32_e32 v1, 16, v55
	v_mul_f16_sdwa v3, v1, v10 dst_sel:DWORD dst_unused:UNUSED_PAD src0_sel:DWORD src1_sel:WORD_1
	v_mul_f16_sdwa v6, v55, v10 dst_sel:DWORD dst_unused:UNUSED_PAD src0_sel:DWORD src1_sel:WORD_1
	v_fma_f16 v3, v55, v10, v3
	v_fma_f16 v1, v1, v10, -v6
	global_load_dword v10, v[36:37], off offset:1192
	ds_read2_b32 v[4:5], v44 offset0:120 offset1:220
	global_load_dword v59, v59, s[8:9] offset:1192
	s_waitcnt lgkmcnt(0)
	v_lshrrev_b32_e32 v6, 16, v4
	global_load_dword v37, v[38:39], off offset:1192
	v_mul_f16_sdwa v7, v4, v11 dst_sel:DWORD dst_unused:UNUSED_PAD src0_sel:DWORD src1_sel:WORD_1
	v_fma_f16 v36, v6, v11, -v7
	v_mul_f16_sdwa v6, v6, v11 dst_sel:DWORD dst_unused:UNUSED_PAD src0_sel:DWORD src1_sel:WORD_1
	v_fma_f16 v11, v4, v11, v6
	ds_read2_b32 v[6:7], v29 offset0:8 offset1:108
	v_lshrrev_b32_e32 v4, 16, v5
	s_waitcnt vmcnt(5)
	v_mul_f16_sdwa v8, v4, v12 dst_sel:DWORD dst_unused:UNUSED_PAD src0_sel:DWORD src1_sel:WORD_1
	v_fma_f16 v29, v5, v12, v8
	v_mul_f16_sdwa v5, v5, v12 dst_sel:DWORD dst_unused:UNUSED_PAD src0_sel:DWORD src1_sel:WORD_1
	v_fma_f16 v12, v4, v12, -v5
	s_waitcnt lgkmcnt(0)
	v_lshrrev_b32_e32 v8, 16, v6
	ds_read2_b32 v[4:5], v43 offset0:80 offset1:180
	v_mul_f16_sdwa v9, v6, v13 dst_sel:DWORD dst_unused:UNUSED_PAD src0_sel:DWORD src1_sel:WORD_1
	v_fma_f16 v38, v8, v13, -v9
	v_mul_f16_sdwa v8, v8, v13 dst_sel:DWORD dst_unused:UNUSED_PAD src0_sel:DWORD src1_sel:WORD_1
	v_fma_f16 v13, v6, v13, v8
	ds_read2_b32 v[8:9], v21 offset0:96 offset1:196
	s_waitcnt lgkmcnt(1)
	v_lshrrev_b32_e32 v6, 16, v5
	v_mul_f16_sdwa v21, v5, v14 dst_sel:DWORD dst_unused:UNUSED_PAD src0_sel:DWORD src1_sel:WORD_1
	v_fma_f16 v21, v6, v14, -v21
	v_mul_f16_sdwa v6, v6, v14 dst_sel:DWORD dst_unused:UNUSED_PAD src0_sel:DWORD src1_sel:WORD_1
	v_fma_f16 v14, v5, v14, v6
	s_waitcnt lgkmcnt(0)
	v_lshrrev_b32_e32 v5, 16, v8
	v_mul_f16_sdwa v6, v8, v15 dst_sel:DWORD dst_unused:UNUSED_PAD src0_sel:DWORD src1_sel:WORD_1
	v_fma_f16 v39, v5, v15, -v6
	v_mul_f16_sdwa v5, v5, v15 dst_sel:DWORD dst_unused:UNUSED_PAD src0_sel:DWORD src1_sel:WORD_1
	v_fma_f16 v15, v8, v15, v5
	v_lshrrev_b32_e32 v5, 16, v7
	s_waitcnt vmcnt(4)
	v_mul_f16_sdwa v6, v5, v65 dst_sel:DWORD dst_unused:UNUSED_PAD src0_sel:DWORD src1_sel:WORD_1
	v_fma_f16 v43, v7, v65, v6
	v_mul_f16_sdwa v6, v7, v65 dst_sel:DWORD dst_unused:UNUSED_PAD src0_sel:DWORD src1_sel:WORD_1
	v_lshrrev_b32_e32 v7, 16, v9
	v_fma_f16 v44, v5, v65, -v6
	ds_read2_b32 v[5:6], v53 offset0:64 offset1:164
	v_mul_f16_sdwa v8, v7, v67 dst_sel:DWORD dst_unused:UNUSED_PAD src0_sel:DWORD src1_sel:WORD_1
	v_fma_f16 v53, v9, v67, v8
	v_mul_f16_sdwa v8, v9, v67 dst_sel:DWORD dst_unused:UNUSED_PAD src0_sel:DWORD src1_sel:WORD_1
	v_fma_f16 v9, v7, v67, -v8
	ds_read2_b32 v[7:8], v52 offset0:152 offset1:252
	s_waitcnt lgkmcnt(1)
	v_lshrrev_b32_e32 v55, 16, v5
	v_mul_f16_sdwa v52, v5, v64 dst_sel:DWORD dst_unused:UNUSED_PAD src0_sel:DWORD src1_sel:WORD_1
	v_fma_f16 v52, v55, v64, -v52
	v_mul_f16_sdwa v55, v55, v64 dst_sel:DWORD dst_unused:UNUSED_PAD src0_sel:DWORD src1_sel:WORD_1
	v_fma_f16 v55, v5, v64, v55
	s_waitcnt lgkmcnt(0)
	v_lshrrev_b32_e32 v5, 16, v7
	v_mul_f16_sdwa v64, v7, v66 dst_sel:DWORD dst_unused:UNUSED_PAD src0_sel:DWORD src1_sel:WORD_1
	v_fma_f16 v64, v5, v66, -v64
	v_mul_f16_sdwa v5, v5, v66 dst_sel:DWORD dst_unused:UNUSED_PAD src0_sel:DWORD src1_sel:WORD_1
	v_fma_f16 v65, v7, v66, v5
	v_lshrrev_b32_e32 v5, 16, v6
	s_waitcnt vmcnt(3)
	v_mul_f16_sdwa v7, v5, v68 dst_sel:DWORD dst_unused:UNUSED_PAD src0_sel:DWORD src1_sel:WORD_1
	v_fma_f16 v66, v6, v68, v7
	v_mul_f16_sdwa v6, v6, v68 dst_sel:DWORD dst_unused:UNUSED_PAD src0_sel:DWORD src1_sel:WORD_1
	v_fma_f16 v67, v5, v68, -v6
	v_lshrrev_b32_e32 v5, 16, v4
	v_mul_f16_sdwa v6, v5, v69 dst_sel:DWORD dst_unused:UNUSED_PAD src0_sel:DWORD src1_sel:WORD_1
	v_fma_f16 v68, v4, v69, v6
	v_mul_f16_sdwa v4, v4, v69 dst_sel:DWORD dst_unused:UNUSED_PAD src0_sel:DWORD src1_sel:WORD_1
	v_fma_f16 v69, v5, v69, -v4
	ds_read2_b32 v[4:5], v41 offset0:40 offset1:140
	v_lshrrev_b32_e32 v6, 16, v8
	v_mul_f16_sdwa v7, v6, v70 dst_sel:DWORD dst_unused:UNUSED_PAD src0_sel:DWORD src1_sel:WORD_1
	v_fma_f16 v41, v8, v70, v7
	v_mul_f16_sdwa v7, v8, v70 dst_sel:DWORD dst_unused:UNUSED_PAD src0_sel:DWORD src1_sel:WORD_1
	v_fma_f16 v8, v6, v70, -v7
	s_waitcnt lgkmcnt(0)
	v_lshrrev_b32_e32 v6, 16, v4
	v_mul_f16_sdwa v7, v4, v71 dst_sel:DWORD dst_unused:UNUSED_PAD src0_sel:DWORD src1_sel:WORD_1
	v_fma_f16 v70, v6, v71, -v7
	v_mul_f16_sdwa v6, v6, v71 dst_sel:DWORD dst_unused:UNUSED_PAD src0_sel:DWORD src1_sel:WORD_1
	v_fma_f16 v4, v4, v71, v6
	ds_read2_b32 v[6:7], v51 offset0:112 offset1:212
	v_lshrrev_b32_e32 v71, 16, v5
	v_sub_f16_e32 v85, v61, v39
	v_sub_f16_e32 v87, v75, v38
	s_waitcnt vmcnt(1)
	v_mul_f16_sdwa v51, v71, v59 dst_sel:DWORD dst_unused:UNUSED_PAD src0_sel:DWORD src1_sel:WORD_1
	v_fma_f16 v51, v5, v59, v51
	v_mul_f16_sdwa v5, v5, v59 dst_sel:DWORD dst_unused:UNUSED_PAD src0_sel:DWORD src1_sel:WORD_1
	v_fma_f16 v5, v71, v59, -v5
	s_waitcnt lgkmcnt(0)
	v_lshrrev_b32_e32 v59, 16, v6
	v_mul_f16_sdwa v71, v6, v10 dst_sel:DWORD dst_unused:UNUSED_PAD src0_sel:DWORD src1_sel:WORD_1
	v_fma_f16 v71, v59, v10, -v71
	v_mul_f16_sdwa v59, v59, v10 dst_sel:DWORD dst_unused:UNUSED_PAD src0_sel:DWORD src1_sel:WORD_1
	v_fma_f16 v6, v6, v10, v59
	v_lshrrev_b32_e32 v10, 16, v7
	s_waitcnt vmcnt(0)
	v_mul_f16_sdwa v59, v10, v37 dst_sel:DWORD dst_unused:UNUSED_PAD src0_sel:DWORD src1_sel:WORD_1
	v_fma_f16 v59, v7, v37, v59
	v_mul_f16_sdwa v7, v7, v37 dst_sel:DWORD dst_unused:UNUSED_PAD src0_sel:DWORD src1_sel:WORD_1
	v_fma_f16 v7, v10, v37, -v7
	v_sub_f16_e32 v10, v74, v76
	v_sub_f16_e32 v37, v15, v13
	v_add_f16_e32 v10, v10, v37
	v_add_f16_e32 v37, v76, v13
	v_fma_f16 v37, v37, -0.5, v72
	v_fma_f16 v86, v85, s10, v37
	v_fma_f16 v37, v85, s6, v37
	;; [unrolled: 1-line block ×6, first 2 shown]
	v_sub_f16_e32 v37, v76, v74
	v_sub_f16_e32 v88, v13, v15
	v_add_f16_e32 v37, v37, v88
	v_add_f16_e32 v88, v74, v15
	v_fma_f16 v88, v88, -0.5, v72
	v_fma_f16 v89, v87, s6, v88
	v_fma_f16 v87, v87, s10, v88
	;; [unrolled: 1-line block ×6, first 2 shown]
	v_add_f16_e32 v85, v72, v74
	v_add_f16_e32 v85, v85, v76
	;; [unrolled: 1-line block ×4, first 2 shown]
	v_sub_f16_e32 v15, v74, v15
	v_sub_f16_e32 v13, v76, v13
	;; [unrolled: 1-line block ×4, first 2 shown]
	v_add_f16_e32 v74, v74, v76
	v_lshrrev_b32_e32 v72, 16, v72
	v_add_f16_e32 v76, v75, v38
	v_fma_f16 v76, v76, -0.5, v72
	v_fma_f16 v88, v15, s6, v76
	v_fma_f16 v76, v15, s10, v76
	;; [unrolled: 1-line block ×6, first 2 shown]
	v_add_f16_e32 v76, v61, v39
	v_fma_f16 v76, v76, -0.5, v72
	v_add_f16_e32 v72, v72, v61
	v_add_f16_e32 v72, v72, v75
	;; [unrolled: 1-line block ×3, first 2 shown]
	v_sub_f16_e32 v61, v75, v61
	v_add_f16_e32 v72, v72, v39
	v_sub_f16_e32 v38, v38, v39
	v_fma_f16 v39, v13, s10, v76
	v_fma_f16 v13, v13, s6, v76
	v_add_f16_e32 v38, v61, v38
	v_fma_f16 v39, v15, s4, v39
	v_fma_f16 v13, v15, s7, v13
	v_fma_f16 v15, v38, s5, v39
	v_fma_f16 v13, v38, s5, v13
	v_sub_f16_e32 v38, v31, v29
	v_sub_f16_e32 v39, v51, v14
	v_add_f16_e32 v38, v38, v39
	v_add_f16_e32 v39, v29, v14
	v_fma_f16 v39, v39, -0.5, v73
	v_sub_f16_e32 v61, v34, v5
	v_fma_f16 v75, v61, s10, v39
	v_sub_f16_e32 v76, v12, v21
	v_fma_f16 v39, v61, s6, v39
	v_fma_f16 v75, v76, s7, v75
	;; [unrolled: 1-line block ×5, first 2 shown]
	v_sub_f16_e32 v39, v29, v31
	v_sub_f16_e32 v89, v14, v51
	v_add_f16_e32 v39, v39, v89
	v_add_f16_e32 v89, v31, v51
	v_fma_f16 v89, v89, -0.5, v73
	v_fma_f16 v90, v76, s6, v89
	v_fma_f16 v76, v76, s10, v89
	;; [unrolled: 1-line block ×6, first 2 shown]
	v_add_f16_e32 v61, v73, v31
	v_add_f16_e32 v61, v61, v29
	;; [unrolled: 1-line block ×4, first 2 shown]
	v_sub_f16_e32 v31, v31, v51
	v_sub_f16_e32 v14, v29, v14
	;; [unrolled: 1-line block ×4, first 2 shown]
	v_add_f16_e32 v29, v29, v51
	v_add_f16_e32 v51, v12, v21
	v_fma_f16 v51, v51, -0.5, v62
	v_fma_f16 v73, v31, s6, v51
	v_fma_f16 v51, v31, s10, v51
	;; [unrolled: 1-line block ×6, first 2 shown]
	v_add_f16_e32 v51, v34, v5
	v_fma_f16 v51, v51, -0.5, v62
	v_add_f16_e32 v62, v62, v34
	v_add_f16_e32 v62, v62, v12
	v_sub_f16_e32 v12, v12, v34
	v_add_f16_e32 v34, v62, v21
	v_add_f16_e32 v34, v34, v5
	v_sub_f16_e32 v5, v21, v5
	v_add_f16_e32 v5, v12, v5
	v_fma_f16 v12, v14, s10, v51
	v_fma_f16 v14, v14, s6, v51
	;; [unrolled: 1-line block ×6, first 2 shown]
	v_mul_f16_e32 v51, 0xbb9c, v5
	v_mul_f16_e32 v5, 0xb4f2, v5
	;; [unrolled: 1-line block ×4, first 2 shown]
	v_fma_f16 v51, v39, s12, v51
	v_fma_f16 v5, v39, s6, v5
	v_mul_f16_e32 v39, 0xb8b4, v29
	v_mul_f16_e32 v29, 0xba79, v29
	v_fma_f16 v12, v76, s6, v12
	v_fma_f16 v29, v38, s4, v29
	v_mul_f16_e32 v14, 0xb8b4, v73
	v_fma_f16 v31, v76, s5, v31
	v_fma_f16 v39, v38, s13, v39
	v_add_f16_e32 v38, v85, v61
	v_sub_f16_e32 v61, v85, v61
	v_add_f16_e32 v76, v15, v12
	v_sub_f16_e32 v12, v15, v12
	;; [unrolled: 2-line block ×4, first 2 shown]
	v_sub_f16_e32 v74, v81, v77
	v_sub_f16_e32 v85, v53, v43
	v_fma_f16 v14, v75, s11, v14
	v_mul_f16_e32 v21, 0x3a79, v73
	v_add_f16_e32 v74, v74, v85
	v_add_f16_e32 v85, v77, v43
	v_fma_f16 v21, v75, s4, v21
	v_add_f16_e32 v62, v86, v14
	v_sub_f16_e32 v14, v86, v14
	v_fma_f16 v85, v85, -0.5, v60
	v_sub_f16_e32 v86, v80, v9
	v_add_f16_e32 v73, v87, v31
	v_sub_f16_e32 v31, v87, v31
	v_add_f16_e32 v75, v37, v51
	;; [unrolled: 2-line block ×5, first 2 shown]
	v_sub_f16_e32 v21, v88, v21
	v_fma_f16 v87, v86, s10, v85
	v_sub_f16_e32 v88, v78, v44
	v_fma_f16 v85, v86, s6, v85
	v_fma_f16 v87, v88, s7, v87
	;; [unrolled: 1-line block ×5, first 2 shown]
	v_sub_f16_e32 v85, v77, v81
	v_sub_f16_e32 v89, v43, v53
	v_add_f16_e32 v85, v85, v89
	v_add_f16_e32 v89, v81, v53
	v_fma_f16 v89, v89, -0.5, v60
	v_fma_f16 v90, v88, s6, v89
	v_fma_f16 v88, v88, s10, v89
	;; [unrolled: 1-line block ×6, first 2 shown]
	v_add_f16_e32 v86, v60, v81
	v_add_f16_e32 v86, v86, v77
	;; [unrolled: 1-line block ×4, first 2 shown]
	v_sub_f16_e32 v53, v81, v53
	v_sub_f16_e32 v43, v77, v43
	;; [unrolled: 1-line block ×4, first 2 shown]
	v_add_f16_e32 v77, v77, v81
	v_lshrrev_b32_e32 v60, 16, v60
	v_add_f16_e32 v81, v78, v44
	v_fma_f16 v81, v81, -0.5, v60
	v_fma_f16 v89, v53, s6, v81
	v_fma_f16 v81, v53, s10, v81
	;; [unrolled: 1-line block ×6, first 2 shown]
	v_add_f16_e32 v81, v80, v9
	v_fma_f16 v81, v81, -0.5, v60
	v_add_f16_e32 v60, v60, v80
	v_add_f16_e32 v60, v60, v78
	;; [unrolled: 1-line block ×3, first 2 shown]
	v_sub_f16_e32 v78, v78, v80
	v_add_f16_e32 v60, v60, v9
	v_sub_f16_e32 v9, v44, v9
	v_fma_f16 v44, v43, s10, v81
	v_fma_f16 v43, v43, s6, v81
	v_add_f16_e32 v9, v78, v9
	v_fma_f16 v44, v53, s4, v44
	v_fma_f16 v43, v53, s7, v43
	;; [unrolled: 1-line block ×4, first 2 shown]
	v_sub_f16_e32 v43, v54, v55
	v_sub_f16_e32 v53, v6, v65
	v_add_f16_e32 v43, v43, v53
	v_add_f16_e32 v53, v55, v65
	v_fma_f16 v53, v53, -0.5, v79
	v_sub_f16_e32 v78, v82, v71
	v_fma_f16 v80, v78, s10, v53
	v_sub_f16_e32 v81, v52, v64
	v_fma_f16 v53, v78, s6, v53
	v_fma_f16 v80, v81, s7, v80
	;; [unrolled: 1-line block ×5, first 2 shown]
	v_sub_f16_e32 v53, v55, v54
	v_sub_f16_e32 v90, v65, v6
	v_add_f16_e32 v53, v53, v90
	v_add_f16_e32 v90, v54, v6
	v_fma_f16 v90, v90, -0.5, v79
	v_fma_f16 v91, v81, s6, v90
	v_fma_f16 v81, v81, s10, v90
	;; [unrolled: 1-line block ×6, first 2 shown]
	v_add_f16_e32 v78, v79, v54
	v_add_f16_e32 v78, v78, v55
	;; [unrolled: 1-line block ×4, first 2 shown]
	v_sub_f16_e32 v6, v54, v6
	v_sub_f16_e32 v54, v55, v65
	;; [unrolled: 1-line block ×4, first 2 shown]
	v_add_f16_e32 v55, v55, v65
	v_add_f16_e32 v65, v52, v64
	v_fma_f16 v65, v65, -0.5, v58
	v_fma_f16 v79, v6, s6, v65
	v_fma_f16 v65, v6, s10, v65
	;; [unrolled: 1-line block ×6, first 2 shown]
	v_add_f16_e32 v65, v82, v71
	v_fma_f16 v65, v65, -0.5, v58
	v_add_f16_e32 v58, v58, v82
	v_add_f16_e32 v58, v58, v52
	v_sub_f16_e32 v52, v52, v82
	v_add_f16_e32 v58, v58, v64
	v_sub_f16_e32 v64, v64, v71
	v_add_f16_e32 v52, v52, v64
	v_fma_f16 v64, v54, s10, v65
	v_fma_f16 v54, v54, s6, v65
	;; [unrolled: 1-line block ×5, first 2 shown]
	v_add_f16_e32 v58, v58, v71
	v_mul_f16_e32 v71, 0xbb9c, v6
	v_mul_f16_e32 v6, 0xb4f2, v6
	v_fma_f16 v71, v53, s12, v71
	v_fma_f16 v6, v53, s6, v6
	v_mul_f16_e32 v53, 0xb8b4, v55
	v_fma_f16 v54, v52, s5, v64
	v_mul_f16_e32 v52, 0xb8b4, v79
	v_mul_f16_e32 v64, 0x3a79, v79
	v_fma_f16 v53, v43, s13, v53
	v_mul_f16_e32 v55, 0xba79, v55
	v_pack_b32_f16 v38, v38, v39
	v_pack_b32_f16 v13, v51, v13
	;; [unrolled: 1-line block ×3, first 2 shown]
	v_fma_f16 v52, v80, s11, v52
	v_fma_f16 v64, v80, s4, v64
	v_mul_f16_e32 v65, 0xbb9c, v54
	v_mul_f16_e32 v54, 0x34f2, v54
	v_fma_f16 v43, v43, s4, v55
	v_add_f16_e32 v55, v86, v78
	v_add_f16_e32 v82, v74, v53
	v_sub_f16_e32 v53, v74, v53
	v_add_f16_e32 v74, v60, v58
	s_barrier
	ds_write_b32 v40, v38
	v_pack_b32_f16 v38, v62, v72
	ds_write_b32 v40, v13 offset:4800
	v_pack_b32_f16 v13, v61, v34
	ds_write_b32 v40, v5 offset:9600
	v_pack_b32_f16 v5, v10, v29
	v_fma_f16 v65, v81, s5, v65
	v_fma_f16 v54, v81, s6, v54
	v_add_f16_e32 v79, v87, v52
	v_sub_f16_e32 v58, v60, v58
	v_add_f16_e32 v60, v89, v64
	ds_write_b32 v40, v38 offset:1200
	v_pack_b32_f16 v38, v73, v76
	v_pack_b32_f16 v15, v75, v15
	ds_write_b32 v40, v13 offset:6000
	v_pack_b32_f16 v13, v14, v21
	v_pack_b32_f16 v12, v31, v12
	ds_write_b32 v40, v5 offset:10800
	v_pack_b32_f16 v5, v55, v74
	v_add_f16_e32 v80, v88, v65
	v_add_f16_e32 v81, v85, v71
	v_sub_f16_e32 v71, v85, v71
	v_add_f16_e32 v85, v44, v54
	ds_write_b32 v40, v38 offset:2400
	ds_write_b32 v40, v15 offset:3600
	;; [unrolled: 1-line block ×4, first 2 shown]
	ds_write_b32 v57, v5
	v_pack_b32_f16 v5, v79, v60
	v_sub_f16_e32 v44, v44, v54
	v_add_f16_e32 v54, v9, v6
	ds_write_b32 v57, v5 offset:1200
	v_pack_b32_f16 v5, v80, v85
	v_sub_f16_e32 v6, v9, v6
	v_add_f16_e32 v9, v77, v43
	ds_write_b32 v57, v5 offset:2400
	v_pack_b32_f16 v5, v81, v54
	v_sub_f16_e32 v78, v86, v78
	ds_write_b32 v57, v5 offset:3600
	v_pack_b32_f16 v5, v82, v9
	v_sub_f16_e32 v52, v87, v52
	v_sub_f16_e32 v64, v89, v64
	ds_write_b32 v57, v5 offset:4800
	v_pack_b32_f16 v5, v78, v58
	v_sub_f16_e32 v65, v88, v65
	ds_write_b32 v57, v5 offset:6000
	v_pack_b32_f16 v5, v52, v64
	ds_write_b32 v57, v5 offset:7200
	v_pack_b32_f16 v5, v65, v44
	v_sub_f16_e32 v43, v77, v43
	ds_write_b32 v57, v5 offset:8400
	v_pack_b32_f16 v5, v71, v6
	ds_write_b32 v57, v5 offset:9600
	v_pack_b32_f16 v5, v53, v43
	ds_write_b32 v57, v5 offset:10800
	v_sub_f16_e32 v5, v83, v11
	v_sub_f16_e32 v6, v4, v68
	v_add_f16_e32 v5, v5, v6
	v_add_f16_e32 v6, v11, v68
	v_fma_f16 v6, v6, -0.5, v63
	v_sub_f16_e32 v9, v84, v70
	v_fma_f16 v10, v9, s10, v6
	v_sub_f16_e32 v12, v36, v69
	v_fma_f16 v6, v9, s6, v6
	v_fma_f16 v10, v12, s7, v10
	;; [unrolled: 1-line block ×5, first 2 shown]
	v_sub_f16_e32 v6, v11, v83
	v_sub_f16_e32 v13, v68, v4
	v_add_f16_e32 v6, v6, v13
	v_add_f16_e32 v13, v83, v4
	v_fma_f16 v13, v13, -0.5, v63
	v_fma_f16 v14, v12, s6, v13
	v_fma_f16 v12, v12, s10, v13
	;; [unrolled: 1-line block ×6, first 2 shown]
	v_add_f16_e32 v9, v63, v83
	v_add_f16_e32 v9, v9, v11
	v_sub_f16_e32 v13, v84, v36
	v_sub_f16_e32 v14, v70, v69
	v_add_f16_e32 v9, v9, v68
	v_add_f16_e32 v13, v13, v14
	v_lshrrev_b32_e32 v14, 16, v63
	v_add_f16_e32 v15, v36, v69
	v_add_f16_e32 v9, v9, v4
	v_sub_f16_e32 v4, v83, v4
	v_fma_f16 v15, v15, -0.5, v14
	v_sub_f16_e32 v11, v11, v68
	v_fma_f16 v21, v4, s6, v15
	v_fma_f16 v15, v4, s10, v15
	;; [unrolled: 1-line block ×6, first 2 shown]
	v_add_f16_e32 v15, v84, v70
	v_fma_f16 v15, v15, -0.5, v14
	v_sub_f16_e32 v29, v36, v84
	v_sub_f16_e32 v31, v69, v70
	v_add_f16_e32 v29, v29, v31
	v_fma_f16 v31, v11, s10, v15
	v_fma_f16 v11, v11, s6, v15
	;; [unrolled: 1-line block ×6, first 2 shown]
	v_sub_f16_e32 v15, v3, v66
	v_sub_f16_e32 v29, v59, v41
	v_add_f16_e32 v15, v15, v29
	v_add_f16_e32 v29, v66, v41
	;; [unrolled: 1-line block ×3, first 2 shown]
	v_fma_f16 v29, v29, -0.5, v2
	v_sub_f16_e32 v31, v1, v7
	v_add_f16_e32 v14, v14, v36
	v_fma_f16 v34, v31, s10, v29
	v_sub_f16_e32 v36, v67, v8
	v_fma_f16 v29, v31, s6, v29
	v_fma_f16 v34, v36, s7, v34
	;; [unrolled: 1-line block ×5, first 2 shown]
	v_sub_f16_e32 v29, v66, v3
	v_sub_f16_e32 v37, v41, v59
	v_add_f16_e32 v29, v29, v37
	v_add_f16_e32 v37, v3, v59
	v_fma_f16 v37, v37, -0.5, v2
	v_fma_f16 v38, v36, s6, v37
	v_fma_f16 v36, v36, s10, v37
	;; [unrolled: 1-line block ×5, first 2 shown]
	v_sub_f16_e32 v37, v1, v67
	v_sub_f16_e32 v38, v7, v8
	v_add_f16_e32 v37, v37, v38
	v_add_f16_e32 v38, v67, v8
	;; [unrolled: 1-line block ×3, first 2 shown]
	v_sub_f16_e32 v3, v3, v59
	v_fma_f16 v38, v38, -0.5, v0
	v_fma_f16 v29, v29, s5, v31
	v_sub_f16_e32 v31, v66, v41
	v_fma_f16 v39, v3, s6, v38
	v_fma_f16 v38, v3, s10, v38
	;; [unrolled: 1-line block ×6, first 2 shown]
	v_add_f16_e32 v38, v1, v7
	v_fma_f16 v38, v38, -0.5, v0
	v_add_f16_e32 v0, v0, v1
	v_add_f16_e32 v0, v0, v67
	;; [unrolled: 1-line block ×3, first 2 shown]
	v_sub_f16_e32 v1, v67, v1
	v_add_f16_e32 v0, v0, v7
	v_sub_f16_e32 v7, v8, v7
	v_add_f16_e32 v1, v1, v7
	v_fma_f16 v7, v31, s10, v38
	v_fma_f16 v8, v31, s6, v38
	;; [unrolled: 1-line block ×6, first 2 shown]
	v_mul_f16_e32 v3, 0xb8b4, v39
	v_mul_f16_e32 v8, 0x3a79, v39
	v_add_f16_e32 v2, v2, v66
	v_fma_f16 v3, v34, s11, v3
	v_fma_f16 v8, v34, s4, v8
	v_mul_f16_e32 v34, 0xbb9c, v1
	v_mul_f16_e32 v1, 0xb4f2, v1
	v_add_f16_e32 v14, v14, v69
	v_add_f16_e32 v2, v2, v41
	v_mul_f16_e32 v31, 0xbb9c, v7
	v_mul_f16_e32 v7, 0x34f2, v7
	v_fma_f16 v34, v29, s12, v34
	v_fma_f16 v1, v29, s6, v1
	v_mul_f16_e32 v29, 0xb8b4, v37
	v_add_f16_e32 v14, v14, v70
	v_add_f16_e32 v2, v2, v59
	v_fma_f16 v31, v36, s5, v31
	v_fma_f16 v7, v36, s6, v7
	;; [unrolled: 1-line block ×3, first 2 shown]
	v_mul_f16_e32 v36, 0xba79, v37
	v_fma_f16 v15, v15, s4, v36
	v_add_f16_e32 v36, v9, v2
	v_sub_f16_e32 v2, v9, v2
	v_add_f16_e32 v9, v10, v3
	v_sub_f16_e32 v3, v10, v3
	;; [unrolled: 2-line block ×7, first 2 shown]
	v_pack_b32_f16 v0, v2, v0
	v_add_f16_e32 v21, v11, v7
	v_sub_f16_e32 v7, v11, v7
	ds_write_b32 v56, v0 offset:6000
	v_pack_b32_f16 v0, v3, v8
	v_add_f16_e32 v11, v4, v1
	v_sub_f16_e32 v1, v4, v1
	v_pack_b32_f16 v9, v9, v14
	ds_write_b32 v56, v0 offset:7200
	v_pack_b32_f16 v0, v12, v7
	v_add_f16_e32 v4, v13, v15
	v_sub_f16_e32 v13, v13, v15
	ds_write_b32 v56, v9 offset:1200
	v_pack_b32_f16 v9, v10, v21
	ds_write_b32 v56, v0 offset:8400
	v_pack_b32_f16 v0, v6, v1
	v_pack_b32_f16 v15, v36, v29
	ds_write_b32 v56, v9 offset:2400
	v_pack_b32_f16 v9, v31, v11
	;; [unrolled: 3-line block ×3, first 2 shown]
	ds_write_b32 v56, v15
	ds_write_b32 v56, v9 offset:3600
	ds_write_b32 v56, v4 offset:4800
	;; [unrolled: 1-line block ×3, first 2 shown]
	s_waitcnt lgkmcnt(0)
	s_barrier
	ds_read_b32 v8, v40
	s_add_u32 s6, s8, 0x2eb8
	s_addc_u32 s7, s9, 0
	v_sub_u32_e32 v2, 0, v17
                                        ; implicit-def: $vgpr4
                                        ; implicit-def: $vgpr3
                                        ; implicit-def: $vgpr5
                                        ; implicit-def: $vgpr0_vgpr1
	s_and_saveexec_b64 s[4:5], s[0:1]
	s_xor_b64 s[4:5], exec, s[4:5]
	s_cbranch_execz .LBB0_15
; %bb.14:
	v_mov_b32_e32 v17, v35
	v_lshlrev_b64 v[0:1], 2, v[16:17]
	v_mov_b32_e32 v3, s7
	v_add_co_u32_e64 v0, s[0:1], s6, v0
	v_addc_co_u32_e64 v1, s[0:1], v3, v1, s[0:1]
	global_load_dword v0, v[0:1], off
	ds_read_b32 v1, v2 offset:12000
	s_waitcnt lgkmcnt(0)
	v_add_f16_sdwa v4, v1, v8 dst_sel:DWORD dst_unused:UNUSED_PAD src0_sel:WORD_1 src1_sel:WORD_1
	v_sub_f16_e32 v5, v8, v1
	v_add_f16_e32 v3, v1, v8
	v_sub_f16_sdwa v1, v8, v1 dst_sel:DWORD dst_unused:UNUSED_PAD src0_sel:WORD_1 src1_sel:WORD_1
	v_mul_f16_e32 v6, 0.5, v4
	v_mul_f16_e32 v4, 0.5, v5
	;; [unrolled: 1-line block ×3, first 2 shown]
	s_waitcnt vmcnt(0)
	v_lshrrev_b32_e32 v5, 16, v0
	v_mul_f16_e32 v7, v5, v4
	v_fma_f16 v8, v6, v5, v1
	v_fma_f16 v1, v6, v5, -v1
	v_fma_f16 v9, v3, 0.5, v7
	v_fma_f16 v5, -v0, v4, v8
	v_fma_f16 v3, v3, 0.5, -v7
	v_fma_f16 v4, -v0, v4, v1
	v_fma_f16 v1, v0, v6, v9
	v_fma_f16 v3, -v0, v6, v3
	ds_write_b16 v40, v1
	v_mov_b32_e32 v0, v16
	v_mov_b32_e32 v1, v17
                                        ; implicit-def: $vgpr8
.LBB0_15:
	s_or_saveexec_b64 s[0:1], s[4:5]
	v_mul_i32_i24_e32 v6, 0xffffffdc, v20
	v_mul_i32_i24_e32 v7, 0xffffffdc, v33
	s_xor_b64 exec, exec, s[0:1]
	s_cbranch_execz .LBB0_17
; %bb.16:
	v_mov_b32_e32 v5, 0
	ds_read_u16 v4, v5 offset:6002
	v_mov_b32_e32 v0, 0
	s_waitcnt lgkmcnt(1)
	v_add_f16_sdwa v9, v8, v8 dst_sel:DWORD dst_unused:UNUSED_PAD src0_sel:WORD_1 src1_sel:DWORD
	v_sub_f16_sdwa v3, v8, v8 dst_sel:DWORD dst_unused:UNUSED_PAD src0_sel:DWORD src1_sel:WORD_1
	v_mov_b32_e32 v1, 0
	s_waitcnt lgkmcnt(0)
	v_xor_b32_e32 v4, 0x8000, v4
	ds_write_b16 v5, v4 offset:6002
	v_mov_b32_e32 v4, 0
	ds_write_b16 v40, v9
.LBB0_17:
	s_or_b64 exec, exec, s[0:1]
	v_mov_b32_e32 v21, 0
	s_waitcnt lgkmcnt(0)
	v_lshlrev_b64 v[8:9], 2, v[20:21]
	v_mov_b32_e32 v10, s7
	v_add_co_u32_e64 v8, s[0:1], s6, v8
	v_addc_co_u32_e64 v9, s[0:1], v10, v9, s[0:1]
	global_load_dword v13, v[8:9], off
	v_mov_b32_e32 v34, v21
	v_lshlrev_b64 v[8:9], 2, v[33:34]
	v_add_u32_e32 v15, v25, v6
	v_add_co_u32_e64 v8, s[0:1], s6, v8
	v_addc_co_u32_e64 v9, s[0:1], v10, v9, s[0:1]
	global_load_dword v14, v[8:9], off
	s_mov_b32 s0, 0x5040100
	v_perm_b32 v3, v4, v3, s0
	v_mov_b32_e32 v25, v21
	ds_write_b16 v40, v5 offset:2
	ds_write_b32 v2, v3 offset:12000
	v_lshlrev_b64 v[3:4], 2, v[24:25]
	v_mov_b32_e32 v20, s7
	v_add_co_u32_e64 v3, s[0:1], s6, v3
	v_addc_co_u32_e64 v4, s[0:1], v20, v4, s[0:1]
	global_load_dword v20, v[3:4], off
	ds_read_b32 v38, v2 offset:11600
	ds_read_b32 v24, v15
	s_mov_b32 s4, 0xffff
	v_add_u32_e32 v17, v27, v7
	v_mov_b32_e32 v27, v21
	v_lshlrev_b64 v[5:6], 2, v[26:27]
	s_waitcnt lgkmcnt(0)
	v_pk_add_f16 v3, v24, v38 neg_lo:[0,1] neg_hi:[0,1]
	v_pk_add_f16 v4, v24, v38
	v_bfi_b32 v24, s4, v3, v4
	v_bfi_b32 v3, s4, v4, v3
	v_pk_mul_f16 v4, v24, 0.5 op_sel_hi:[1,0]
	v_pk_mul_f16 v3, v3, 0.5 op_sel_hi:[1,0]
	v_mov_b32_e32 v34, s7
	v_add_co_u32_e64 v5, s[0:1], s6, v5
	v_addc_co_u32_e64 v6, s[0:1], v34, v6, s[0:1]
	v_mov_b32_e32 v29, v21
	v_lshlrev_b64 v[7:8], 2, v[28:29]
	v_mov_b32_e32 v35, s7
	v_mov_b32_e32 v31, v21
	v_lshlrev_b64 v[9:10], 2, v[30:31]
	v_mov_b32_e32 v36, s7
	;; [unrolled: 3-line block ×3, first 2 shown]
	v_lshlrev_b64 v[0:1], 2, v[0:1]
	s_movk_i32 s5, 0x1000
	s_waitcnt vmcnt(2)
	v_pk_fma_f16 v24, v13, v4, v3 op_sel:[1,0,0]
	v_pk_mul_f16 v25, v13, v4 op_sel_hi:[0,1]
	v_pk_fma_f16 v26, v13, v4, v3 op_sel:[1,0,0] neg_lo:[1,0,0] neg_hi:[1,0,0]
	v_pk_fma_f16 v3, v13, v4, v3 op_sel:[1,0,0] neg_lo:[0,0,1] neg_hi:[0,0,1]
	v_pk_add_f16 v4, v24, v25 op_sel:[0,1] op_sel_hi:[1,0]
	v_pk_add_f16 v13, v24, v25 op_sel:[0,1] op_sel_hi:[1,0] neg_lo:[0,1] neg_hi:[0,1]
	v_pk_add_f16 v24, v26, v25 op_sel:[0,1] op_sel_hi:[1,0] neg_lo:[0,1] neg_hi:[0,1]
	;; [unrolled: 1-line block ×3, first 2 shown]
	v_bfi_b32 v4, s4, v4, v13
	v_bfi_b32 v3, s4, v24, v3
	ds_write_b32 v15, v4
	ds_write_b32 v2, v3 offset:11600
	ds_read_b32 v13, v17
	ds_read_b32 v15, v2 offset:11200
	global_load_dword v25, v[5:6], off
	v_add_co_u32_e64 v3, s[0:1], s6, v7
	v_addc_co_u32_e64 v4, s[0:1], v35, v8, s[0:1]
	s_waitcnt lgkmcnt(0)
	v_pk_add_f16 v5, v13, v15 neg_lo:[0,1] neg_hi:[0,1]
	v_pk_add_f16 v6, v13, v15
	v_bfi_b32 v7, s4, v5, v6
	v_bfi_b32 v5, s4, v6, v5
	v_pk_mul_f16 v6, v7, 0.5 op_sel_hi:[1,0]
	v_pk_mul_f16 v5, v5, 0.5 op_sel_hi:[1,0]
	s_waitcnt vmcnt(2)
	v_pk_fma_f16 v7, v14, v6, v5 op_sel:[1,0,0]
	v_pk_mul_f16 v8, v14, v6 op_sel_hi:[0,1]
	v_pk_fma_f16 v13, v14, v6, v5 op_sel:[1,0,0] neg_lo:[1,0,0] neg_hi:[1,0,0]
	v_pk_fma_f16 v5, v14, v6, v5 op_sel:[1,0,0] neg_lo:[0,0,1] neg_hi:[0,0,1]
	v_pk_add_f16 v6, v7, v8 op_sel:[0,1] op_sel_hi:[1,0]
	v_pk_add_f16 v7, v7, v8 op_sel:[0,1] op_sel_hi:[1,0] neg_lo:[0,1] neg_hi:[0,1]
	v_pk_add_f16 v13, v13, v8 op_sel:[0,1] op_sel_hi:[1,0] neg_lo:[0,1] neg_hi:[0,1]
	;; [unrolled: 1-line block ×3, first 2 shown]
	v_bfi_b32 v6, s4, v6, v7
	v_bfi_b32 v5, s4, v13, v5
	ds_write_b32 v17, v6
	ds_write_b32 v2, v5 offset:11200
	v_add_co_u32_e64 v5, s[0:1], s6, v9
	ds_read_b32 v7, v49
	ds_read_b32 v8, v2 offset:10800
	v_addc_co_u32_e64 v6, s[0:1], v36, v10, s[0:1]
	global_load_dword v13, v[3:4], off
	global_load_dword v14, v[5:6], off
	v_mov_b32_e32 v24, v21
	s_waitcnt lgkmcnt(0)
	v_pk_add_f16 v3, v7, v8 neg_lo:[0,1] neg_hi:[0,1]
	v_pk_add_f16 v4, v7, v8
	v_bfi_b32 v5, s4, v3, v4
	v_bfi_b32 v3, s4, v4, v3
	v_pk_mul_f16 v15, v5, 0.5 op_sel_hi:[1,0]
	v_pk_mul_f16 v17, v3, 0.5 op_sel_hi:[1,0]
	v_add_co_u32_e64 v3, s[0:1], s6, v11
	v_lshlrev_b64 v[5:6], 2, v[23:24]
	v_addc_co_u32_e64 v4, s[0:1], v37, v12, s[0:1]
	v_mov_b32_e32 v7, s7
	v_add_co_u32_e64 v5, s[0:1], s6, v5
	v_mov_b32_e32 v23, v21
	v_addc_co_u32_e64 v6, s[0:1], v7, v6, s[0:1]
	v_lshlrev_b64 v[7:8], 2, v[22:23]
	v_mov_b32_e32 v9, s7
	v_add_co_u32_e64 v7, s[0:1], s6, v7
	v_addc_co_u32_e64 v8, s[0:1], v9, v8, s[0:1]
	v_mov_b32_e32 v10, s7
	v_add_co_u32_e64 v9, s[0:1], s6, v0
	v_addc_co_u32_e64 v10, s[0:1], v10, v1, s[0:1]
	global_load_dword v11, v[3:4], off
	global_load_dword v12, v[5:6], off
	;; [unrolled: 1-line block ×3, first 2 shown]
	global_load_dword v22, v[9:10], off offset:4000
	s_waitcnt vmcnt(7)
	v_pk_fma_f16 v3, v20, v15, v17 op_sel:[1,0,0]
	v_pk_mul_f16 v4, v20, v15 op_sel_hi:[0,1]
	v_pk_add_f16 v5, v3, v4 op_sel:[0,1] op_sel_hi:[1,0]
	v_pk_add_f16 v3, v3, v4 op_sel:[0,1] op_sel_hi:[1,0] neg_lo:[0,1] neg_hi:[0,1]
	v_bfi_b32 v3, s4, v5, v3
	ds_write_b32 v49, v3
	v_pk_fma_f16 v3, v20, v15, v17 op_sel:[1,0,0] neg_lo:[1,0,0] neg_hi:[1,0,0]
	v_pk_fma_f16 v5, v20, v15, v17 op_sel:[1,0,0] neg_lo:[0,0,1] neg_hi:[0,0,1]
	v_pk_add_f16 v3, v3, v4 op_sel:[0,1] op_sel_hi:[1,0] neg_lo:[0,1] neg_hi:[0,1]
	v_pk_add_f16 v4, v5, v4 op_sel:[0,1] op_sel_hi:[1,0] neg_lo:[0,1] neg_hi:[0,1]
	v_bfi_b32 v3, s4, v3, v4
	ds_write_b32 v2, v3 offset:10800
	ds_read_b32 v3, v48
	ds_read_b32 v4, v2 offset:10400
	s_waitcnt lgkmcnt(0)
	v_pk_add_f16 v5, v3, v4 neg_lo:[0,1] neg_hi:[0,1]
	v_pk_add_f16 v3, v3, v4
	v_bfi_b32 v4, s4, v5, v3
	v_bfi_b32 v3, s4, v3, v5
	v_pk_mul_f16 v4, v4, 0.5 op_sel_hi:[1,0]
	v_pk_mul_f16 v3, v3, 0.5 op_sel_hi:[1,0]
	s_waitcnt vmcnt(6)
	v_pk_fma_f16 v5, v25, v4, v3 op_sel:[1,0,0]
	v_pk_mul_f16 v6, v25, v4 op_sel_hi:[0,1]
	v_pk_add_f16 v7, v5, v6 op_sel:[0,1] op_sel_hi:[1,0]
	v_pk_add_f16 v5, v5, v6 op_sel:[0,1] op_sel_hi:[1,0] neg_lo:[0,1] neg_hi:[0,1]
	v_bfi_b32 v5, s4, v7, v5
	ds_write_b32 v48, v5
	v_pk_fma_f16 v5, v25, v4, v3 op_sel:[1,0,0] neg_lo:[1,0,0] neg_hi:[1,0,0]
	v_pk_fma_f16 v3, v25, v4, v3 op_sel:[1,0,0] neg_lo:[0,0,1] neg_hi:[0,0,1]
	v_pk_add_f16 v5, v5, v6 op_sel:[0,1] op_sel_hi:[1,0] neg_lo:[0,1] neg_hi:[0,1]
	v_pk_add_f16 v3, v3, v6 op_sel:[0,1] op_sel_hi:[1,0] neg_lo:[0,1] neg_hi:[0,1]
	v_bfi_b32 v3, s4, v5, v3
	ds_write_b32 v2, v3 offset:10400
	ds_read_b32 v3, v47
	ds_read_b32 v4, v2 offset:10000
	s_waitcnt lgkmcnt(0)
	v_pk_add_f16 v5, v3, v4 neg_lo:[0,1] neg_hi:[0,1]
	v_pk_add_f16 v3, v3, v4
	v_bfi_b32 v4, s4, v5, v3
	v_bfi_b32 v3, s4, v3, v5
	v_pk_mul_f16 v4, v4, 0.5 op_sel_hi:[1,0]
	v_pk_mul_f16 v3, v3, 0.5 op_sel_hi:[1,0]
	;; [unrolled: 22-line block ×4, first 2 shown]
	s_waitcnt vmcnt(3)
	v_pk_fma_f16 v5, v11, v4, v3 op_sel:[1,0,0]
	v_pk_mul_f16 v6, v11, v4 op_sel_hi:[0,1]
	v_pk_add_f16 v7, v5, v6 op_sel:[0,1] op_sel_hi:[1,0]
	v_pk_add_f16 v5, v5, v6 op_sel:[0,1] op_sel_hi:[1,0] neg_lo:[0,1] neg_hi:[0,1]
	v_bfi_b32 v5, s4, v7, v5
	ds_write_b32 v45, v5
	v_pk_fma_f16 v5, v11, v4, v3 op_sel:[1,0,0] neg_lo:[1,0,0] neg_hi:[1,0,0]
	v_pk_fma_f16 v3, v11, v4, v3 op_sel:[1,0,0] neg_lo:[0,0,1] neg_hi:[0,0,1]
	v_pk_add_f16 v5, v5, v6 op_sel:[0,1] op_sel_hi:[1,0] neg_lo:[0,1] neg_hi:[0,1]
	v_pk_add_f16 v3, v3, v6 op_sel:[0,1] op_sel_hi:[1,0] neg_lo:[0,1] neg_hi:[0,1]
	v_bfi_b32 v3, s4, v5, v3
	ds_write_b32 v2, v3 offset:9200
	v_add_co_u32_e64 v3, s[0:1], s5, v9
	v_addc_co_u32_e64 v4, s[0:1], 0, v10, s[0:1]
	ds_read_b32 v5, v42
	ds_read_b32 v6, v2 offset:8800
	global_load_dword v7, v[3:4], off offset:304
	s_waitcnt lgkmcnt(0)
	v_pk_add_f16 v8, v5, v6 neg_lo:[0,1] neg_hi:[0,1]
	v_pk_add_f16 v5, v5, v6
	v_bfi_b32 v6, s4, v8, v5
	v_bfi_b32 v5, s4, v5, v8
	v_pk_mul_f16 v6, v6, 0.5 op_sel_hi:[1,0]
	v_pk_mul_f16 v5, v5, 0.5 op_sel_hi:[1,0]
	s_waitcnt vmcnt(3)
	v_pk_fma_f16 v8, v12, v6, v5 op_sel:[1,0,0]
	v_pk_mul_f16 v9, v12, v6 op_sel_hi:[0,1]
	v_pk_add_f16 v10, v8, v9 op_sel:[0,1] op_sel_hi:[1,0]
	v_pk_add_f16 v8, v8, v9 op_sel:[0,1] op_sel_hi:[1,0] neg_lo:[0,1] neg_hi:[0,1]
	v_bfi_b32 v8, s4, v10, v8
	ds_write_b32 v42, v8
	v_pk_fma_f16 v8, v12, v6, v5 op_sel:[1,0,0] neg_lo:[1,0,0] neg_hi:[1,0,0]
	v_pk_fma_f16 v5, v12, v6, v5 op_sel:[1,0,0] neg_lo:[0,0,1] neg_hi:[0,0,1]
	v_pk_add_f16 v8, v8, v9 op_sel:[0,1] op_sel_hi:[1,0] neg_lo:[0,1] neg_hi:[0,1]
	v_pk_add_f16 v5, v5, v9 op_sel:[0,1] op_sel_hi:[1,0] neg_lo:[0,1] neg_hi:[0,1]
	v_bfi_b32 v5, s4, v8, v5
	ds_write_b32 v2, v5 offset:8800
	ds_read_b32 v5, v50
	ds_read_b32 v6, v2 offset:8400
	global_load_dword v8, v[3:4], off offset:704
	s_waitcnt lgkmcnt(0)
	v_pk_add_f16 v9, v5, v6 neg_lo:[0,1] neg_hi:[0,1]
	v_pk_add_f16 v5, v5, v6
	v_bfi_b32 v6, s4, v9, v5
	v_bfi_b32 v5, s4, v5, v9
	v_pk_mul_f16 v6, v6, 0.5 op_sel_hi:[1,0]
	v_pk_mul_f16 v5, v5, 0.5 op_sel_hi:[1,0]
	s_waitcnt vmcnt(3)
	v_pk_fma_f16 v9, v21, v6, v5 op_sel:[1,0,0]
	v_pk_mul_f16 v10, v21, v6 op_sel_hi:[0,1]
	v_pk_add_f16 v11, v9, v10 op_sel:[0,1] op_sel_hi:[1,0]
	v_pk_add_f16 v9, v9, v10 op_sel:[0,1] op_sel_hi:[1,0] neg_lo:[0,1] neg_hi:[0,1]
	v_bfi_b32 v9, s4, v11, v9
	ds_write_b32 v50, v9
	v_pk_fma_f16 v9, v21, v6, v5 op_sel:[1,0,0] neg_lo:[1,0,0] neg_hi:[1,0,0]
	v_pk_fma_f16 v5, v21, v6, v5 op_sel:[1,0,0] neg_lo:[0,0,1] neg_hi:[0,0,1]
	v_pk_add_f16 v9, v9, v10 op_sel:[0,1] op_sel_hi:[1,0] neg_lo:[0,1] neg_hi:[0,1]
	v_pk_add_f16 v5, v5, v10 op_sel:[0,1] op_sel_hi:[1,0] neg_lo:[0,1] neg_hi:[0,1]
	v_bfi_b32 v5, s4, v9, v5
	ds_write_b32 v2, v5 offset:8400
	ds_read_b32 v5, v40 offset:4000
	ds_read_b32 v6, v2 offset:8000
	global_load_dword v9, v[3:4], off offset:1104
	s_waitcnt lgkmcnt(0)
	v_pk_add_f16 v10, v5, v6 neg_lo:[0,1] neg_hi:[0,1]
	v_pk_add_f16 v5, v5, v6
	v_bfi_b32 v6, s4, v10, v5
	v_bfi_b32 v5, s4, v5, v10
	v_pk_mul_f16 v6, v6, 0.5 op_sel_hi:[1,0]
	v_pk_mul_f16 v5, v5, 0.5 op_sel_hi:[1,0]
	s_waitcnt vmcnt(3)
	v_pk_fma_f16 v10, v22, v6, v5 op_sel:[1,0,0]
	v_pk_mul_f16 v11, v22, v6 op_sel_hi:[0,1]
	v_pk_add_f16 v12, v10, v11 op_sel:[0,1] op_sel_hi:[1,0]
	v_pk_add_f16 v10, v10, v11 op_sel:[0,1] op_sel_hi:[1,0] neg_lo:[0,1] neg_hi:[0,1]
	v_bfi_b32 v10, s4, v12, v10
	ds_write_b32 v40, v10 offset:4000
	v_pk_fma_f16 v10, v22, v6, v5 op_sel:[1,0,0] neg_lo:[1,0,0] neg_hi:[1,0,0]
	v_pk_fma_f16 v5, v22, v6, v5 op_sel:[1,0,0] neg_lo:[0,0,1] neg_hi:[0,0,1]
	v_pk_add_f16 v10, v10, v11 op_sel:[0,1] op_sel_hi:[1,0] neg_lo:[0,1] neg_hi:[0,1]
	v_pk_add_f16 v5, v5, v11 op_sel:[0,1] op_sel_hi:[1,0] neg_lo:[0,1] neg_hi:[0,1]
	v_bfi_b32 v5, s4, v10, v5
	ds_write_b32 v2, v5 offset:8000
	ds_read_b32 v5, v40 offset:4400
	ds_read_b32 v6, v2 offset:7600
	global_load_dword v3, v[3:4], off offset:1504
	s_waitcnt lgkmcnt(0)
	v_pk_add_f16 v4, v5, v6 neg_lo:[0,1] neg_hi:[0,1]
	v_pk_add_f16 v5, v5, v6
	v_bfi_b32 v6, s4, v4, v5
	v_bfi_b32 v4, s4, v5, v4
	v_pk_mul_f16 v5, v6, 0.5 op_sel_hi:[1,0]
	v_pk_mul_f16 v4, v4, 0.5 op_sel_hi:[1,0]
	s_waitcnt vmcnt(3)
	v_pk_fma_f16 v6, v7, v5, v4 op_sel:[1,0,0]
	v_pk_mul_f16 v10, v7, v5 op_sel_hi:[0,1]
	v_pk_add_f16 v11, v6, v10 op_sel:[0,1] op_sel_hi:[1,0]
	v_pk_add_f16 v6, v6, v10 op_sel:[0,1] op_sel_hi:[1,0] neg_lo:[0,1] neg_hi:[0,1]
	v_bfi_b32 v6, s4, v11, v6
	ds_write_b32 v40, v6 offset:4400
	v_pk_fma_f16 v6, v7, v5, v4 op_sel:[1,0,0] neg_lo:[1,0,0] neg_hi:[1,0,0]
	v_pk_fma_f16 v4, v7, v5, v4 op_sel:[1,0,0] neg_lo:[0,0,1] neg_hi:[0,0,1]
	v_pk_add_f16 v6, v6, v10 op_sel:[0,1] op_sel_hi:[1,0] neg_lo:[0,1] neg_hi:[0,1]
	v_pk_add_f16 v4, v4, v10 op_sel:[0,1] op_sel_hi:[1,0] neg_lo:[0,1] neg_hi:[0,1]
	v_bfi_b32 v4, s4, v6, v4
	ds_write_b32 v2, v4 offset:7600
	ds_read_b32 v4, v40 offset:4800
	ds_read_b32 v5, v2 offset:7200
	s_waitcnt lgkmcnt(0)
	v_pk_add_f16 v6, v4, v5 neg_lo:[0,1] neg_hi:[0,1]
	v_pk_add_f16 v4, v4, v5
	v_bfi_b32 v5, s4, v6, v4
	v_bfi_b32 v4, s4, v4, v6
	v_pk_mul_f16 v5, v5, 0.5 op_sel_hi:[1,0]
	v_pk_mul_f16 v4, v4, 0.5 op_sel_hi:[1,0]
	s_waitcnt vmcnt(2)
	v_pk_fma_f16 v6, v8, v5, v4 op_sel:[1,0,0]
	v_pk_mul_f16 v7, v8, v5 op_sel_hi:[0,1]
	v_pk_add_f16 v10, v6, v7 op_sel:[0,1] op_sel_hi:[1,0]
	v_pk_add_f16 v6, v6, v7 op_sel:[0,1] op_sel_hi:[1,0] neg_lo:[0,1] neg_hi:[0,1]
	v_bfi_b32 v6, s4, v10, v6
	ds_write_b32 v40, v6 offset:4800
	v_pk_fma_f16 v6, v8, v5, v4 op_sel:[1,0,0] neg_lo:[1,0,0] neg_hi:[1,0,0]
	v_pk_fma_f16 v4, v8, v5, v4 op_sel:[1,0,0] neg_lo:[0,0,1] neg_hi:[0,0,1]
	v_pk_add_f16 v6, v6, v7 op_sel:[0,1] op_sel_hi:[1,0] neg_lo:[0,1] neg_hi:[0,1]
	v_pk_add_f16 v4, v4, v7 op_sel:[0,1] op_sel_hi:[1,0] neg_lo:[0,1] neg_hi:[0,1]
	v_bfi_b32 v4, s4, v6, v4
	ds_write_b32 v2, v4 offset:7200
	ds_read_b32 v4, v40 offset:5200
	ds_read_b32 v5, v2 offset:6800
	;; [unrolled: 22-line block ×3, first 2 shown]
	s_waitcnt lgkmcnt(0)
	v_pk_add_f16 v6, v4, v5 neg_lo:[0,1] neg_hi:[0,1]
	v_pk_add_f16 v4, v4, v5
	v_bfi_b32 v5, s4, v6, v4
	v_bfi_b32 v4, s4, v4, v6
	v_pk_mul_f16 v5, v5, 0.5 op_sel_hi:[1,0]
	v_pk_mul_f16 v4, v4, 0.5 op_sel_hi:[1,0]
	s_waitcnt vmcnt(0)
	v_pk_fma_f16 v6, v3, v5, v4 op_sel:[1,0,0]
	v_pk_mul_f16 v7, v3, v5 op_sel_hi:[0,1]
	v_pk_add_f16 v8, v6, v7 op_sel:[0,1] op_sel_hi:[1,0]
	v_pk_add_f16 v6, v6, v7 op_sel:[0,1] op_sel_hi:[1,0] neg_lo:[0,1] neg_hi:[0,1]
	v_bfi_b32 v6, s4, v8, v6
	ds_write_b32 v40, v6 offset:5600
	v_pk_fma_f16 v6, v3, v5, v4 op_sel:[1,0,0] neg_lo:[1,0,0] neg_hi:[1,0,0]
	v_pk_fma_f16 v3, v3, v5, v4 op_sel:[1,0,0] neg_lo:[0,0,1] neg_hi:[0,0,1]
	v_pk_add_f16 v6, v6, v7 op_sel:[0,1] op_sel_hi:[1,0] neg_lo:[0,1] neg_hi:[0,1]
	v_pk_add_f16 v3, v3, v7 op_sel:[0,1] op_sel_hi:[1,0] neg_lo:[0,1] neg_hi:[0,1]
	v_bfi_b32 v3, s4, v6, v3
	ds_write_b32 v2, v3 offset:6400
	s_waitcnt lgkmcnt(0)
	s_barrier
	s_and_saveexec_b64 s[0:1], vcc
	s_cbranch_execz .LBB0_20
; %bb.18:
	ds_read2_b32 v[4:5], v40 offset1:100
	v_mov_b32_e32 v2, s3
	v_add_co_u32_e32 v3, vcc, s2, v18
	v_add_u32_e32 v6, 0x200, v40
	v_addc_co_u32_e32 v2, vcc, v2, v19, vcc
	ds_read2_b32 v[6:7], v6 offset0:72 offset1:172
	v_add_co_u32_e32 v0, vcc, v3, v0
	v_add_u32_e32 v8, 0x400, v40
	v_addc_co_u32_e32 v1, vcc, v2, v1, vcc
	ds_read2_b32 v[8:9], v8 offset0:144 offset1:244
	s_waitcnt lgkmcnt(2)
	global_store_dword v[0:1], v4, off
	global_store_dword v[0:1], v5, off offset:400
	s_waitcnt lgkmcnt(1)
	global_store_dword v[0:1], v6, off offset:800
	global_store_dword v[0:1], v7, off offset:1200
	s_waitcnt lgkmcnt(0)
	global_store_dword v[0:1], v8, off offset:1600
	global_store_dword v[0:1], v9, off offset:2000
	v_add_u32_e32 v4, 0x800, v40
	ds_read2_b32 v[4:5], v4 offset0:88 offset1:188
	v_add_u32_e32 v6, 0xc00, v40
	ds_read2_b32 v[6:7], v6 offset0:32 offset1:132
	;; [unrolled: 2-line block ×3, first 2 shown]
	s_waitcnt lgkmcnt(2)
	global_store_dword v[0:1], v4, off offset:2400
	global_store_dword v[0:1], v5, off offset:2800
	s_waitcnt lgkmcnt(1)
	global_store_dword v[0:1], v6, off offset:3200
	global_store_dword v[0:1], v7, off offset:3600
	s_waitcnt lgkmcnt(0)
	global_store_dword v[0:1], v8, off offset:4000
	v_add_u32_e32 v4, 0x1200, v40
	ds_read2_b32 v[4:5], v4 offset0:48 offset1:148
	v_add_u32_e32 v6, 0x1400, v40
	ds_read2_b32 v[6:7], v6 offset0:120 offset1:220
	v_add_co_u32_e32 v10, vcc, s5, v0
	v_addc_co_u32_e32 v11, vcc, 0, v1, vcc
	global_store_dword v[10:11], v9, off offset:304
	s_waitcnt lgkmcnt(1)
	global_store_dword v[10:11], v4, off offset:704
	global_store_dword v[10:11], v5, off offset:1104
	s_waitcnt lgkmcnt(0)
	global_store_dword v[10:11], v6, off offset:1504
	global_store_dword v[10:11], v7, off offset:1904
	v_add_u32_e32 v4, 0x1800, v40
	ds_read2_b32 v[4:5], v4 offset0:64 offset1:164
	v_add_u32_e32 v6, 0x1c00, v40
	ds_read2_b32 v[6:7], v6 offset0:8 offset1:108
	;; [unrolled: 2-line block ×3, first 2 shown]
	s_waitcnt lgkmcnt(2)
	global_store_dword v[10:11], v4, off offset:2304
	global_store_dword v[10:11], v5, off offset:2704
	s_waitcnt lgkmcnt(1)
	global_store_dword v[10:11], v6, off offset:3104
	global_store_dword v[10:11], v7, off offset:3504
	s_waitcnt lgkmcnt(0)
	global_store_dword v[10:11], v8, off offset:3904
	v_add_u32_e32 v4, 0x2000, v40
	ds_read2_b32 v[4:5], v4 offset0:152 offset1:252
	s_movk_i32 s0, 0x2000
	v_add_co_u32_e32 v0, vcc, s0, v0
	v_addc_co_u32_e32 v1, vcc, 0, v1, vcc
	global_store_dword v[0:1], v9, off offset:208
	s_waitcnt lgkmcnt(0)
	global_store_dword v[0:1], v4, off offset:608
	global_store_dword v[0:1], v5, off offset:1008
	v_add_u32_e32 v4, 0x2400, v40
	ds_read2_b32 v[4:5], v4 offset0:96 offset1:196
	v_add_u32_e32 v6, 0x2800, v40
	ds_read2_b32 v[6:7], v6 offset0:40 offset1:140
	v_add_u32_e32 v8, 0x2a00, v40
	s_movk_i32 s0, 0x63
	ds_read2_b32 v[8:9], v8 offset0:112 offset1:212
	v_cmp_eq_u32_e32 vcc, s0, v16
	s_waitcnt lgkmcnt(2)
	global_store_dword v[0:1], v4, off offset:1408
	global_store_dword v[0:1], v5, off offset:1808
	s_waitcnt lgkmcnt(1)
	global_store_dword v[0:1], v6, off offset:2208
	global_store_dword v[0:1], v7, off offset:2608
	;; [unrolled: 3-line block ×3, first 2 shown]
	s_and_b64 exec, exec, vcc
	s_cbranch_execz .LBB0_20
; %bb.19:
	v_mov_b32_e32 v0, 0
	ds_read_b32 v4, v0 offset:12000
	v_add_co_u32_e32 v0, vcc, 0x2000, v3
	v_addc_co_u32_e32 v1, vcc, 0, v2, vcc
	s_waitcnt lgkmcnt(0)
	global_store_dword v[0:1], v4, off offset:3808
.LBB0_20:
	s_endpgm
	.section	.rodata,"a",@progbits
	.p2align	6, 0x0
	.amdhsa_kernel fft_rtc_back_len3000_factors_10_3_10_10_wgs_100_tpt_100_halfLds_half_ip_CI_unitstride_sbrr_R2C_dirReg
		.amdhsa_group_segment_fixed_size 0
		.amdhsa_private_segment_fixed_size 0
		.amdhsa_kernarg_size 88
		.amdhsa_user_sgpr_count 6
		.amdhsa_user_sgpr_private_segment_buffer 1
		.amdhsa_user_sgpr_dispatch_ptr 0
		.amdhsa_user_sgpr_queue_ptr 0
		.amdhsa_user_sgpr_kernarg_segment_ptr 1
		.amdhsa_user_sgpr_dispatch_id 0
		.amdhsa_user_sgpr_flat_scratch_init 0
		.amdhsa_user_sgpr_private_segment_size 0
		.amdhsa_uses_dynamic_stack 0
		.amdhsa_system_sgpr_private_segment_wavefront_offset 0
		.amdhsa_system_sgpr_workgroup_id_x 1
		.amdhsa_system_sgpr_workgroup_id_y 0
		.amdhsa_system_sgpr_workgroup_id_z 0
		.amdhsa_system_sgpr_workgroup_info 0
		.amdhsa_system_vgpr_workitem_id 0
		.amdhsa_next_free_vgpr 127
		.amdhsa_next_free_sgpr 22
		.amdhsa_reserve_vcc 1
		.amdhsa_reserve_flat_scratch 0
		.amdhsa_float_round_mode_32 0
		.amdhsa_float_round_mode_16_64 0
		.amdhsa_float_denorm_mode_32 3
		.amdhsa_float_denorm_mode_16_64 3
		.amdhsa_dx10_clamp 1
		.amdhsa_ieee_mode 1
		.amdhsa_fp16_overflow 0
		.amdhsa_exception_fp_ieee_invalid_op 0
		.amdhsa_exception_fp_denorm_src 0
		.amdhsa_exception_fp_ieee_div_zero 0
		.amdhsa_exception_fp_ieee_overflow 0
		.amdhsa_exception_fp_ieee_underflow 0
		.amdhsa_exception_fp_ieee_inexact 0
		.amdhsa_exception_int_div_zero 0
	.end_amdhsa_kernel
	.text
.Lfunc_end0:
	.size	fft_rtc_back_len3000_factors_10_3_10_10_wgs_100_tpt_100_halfLds_half_ip_CI_unitstride_sbrr_R2C_dirReg, .Lfunc_end0-fft_rtc_back_len3000_factors_10_3_10_10_wgs_100_tpt_100_halfLds_half_ip_CI_unitstride_sbrr_R2C_dirReg
                                        ; -- End function
	.section	.AMDGPU.csdata,"",@progbits
; Kernel info:
; codeLenInByte = 21124
; NumSgprs: 26
; NumVgprs: 127
; ScratchSize: 0
; MemoryBound: 0
; FloatMode: 240
; IeeeMode: 1
; LDSByteSize: 0 bytes/workgroup (compile time only)
; SGPRBlocks: 3
; VGPRBlocks: 31
; NumSGPRsForWavesPerEU: 26
; NumVGPRsForWavesPerEU: 127
; Occupancy: 2
; WaveLimiterHint : 1
; COMPUTE_PGM_RSRC2:SCRATCH_EN: 0
; COMPUTE_PGM_RSRC2:USER_SGPR: 6
; COMPUTE_PGM_RSRC2:TRAP_HANDLER: 0
; COMPUTE_PGM_RSRC2:TGID_X_EN: 1
; COMPUTE_PGM_RSRC2:TGID_Y_EN: 0
; COMPUTE_PGM_RSRC2:TGID_Z_EN: 0
; COMPUTE_PGM_RSRC2:TIDIG_COMP_CNT: 0
	.type	__hip_cuid_82297b0ef9ecee88,@object ; @__hip_cuid_82297b0ef9ecee88
	.section	.bss,"aw",@nobits
	.globl	__hip_cuid_82297b0ef9ecee88
__hip_cuid_82297b0ef9ecee88:
	.byte	0                               ; 0x0
	.size	__hip_cuid_82297b0ef9ecee88, 1

	.ident	"AMD clang version 19.0.0git (https://github.com/RadeonOpenCompute/llvm-project roc-6.4.0 25133 c7fe45cf4b819c5991fe208aaa96edf142730f1d)"
	.section	".note.GNU-stack","",@progbits
	.addrsig
	.addrsig_sym __hip_cuid_82297b0ef9ecee88
	.amdgpu_metadata
---
amdhsa.kernels:
  - .args:
      - .actual_access:  read_only
        .address_space:  global
        .offset:         0
        .size:           8
        .value_kind:     global_buffer
      - .offset:         8
        .size:           8
        .value_kind:     by_value
      - .actual_access:  read_only
        .address_space:  global
        .offset:         16
        .size:           8
        .value_kind:     global_buffer
      - .actual_access:  read_only
        .address_space:  global
        .offset:         24
        .size:           8
        .value_kind:     global_buffer
      - .offset:         32
        .size:           8
        .value_kind:     by_value
      - .actual_access:  read_only
        .address_space:  global
        .offset:         40
        .size:           8
        .value_kind:     global_buffer
      - .actual_access:  read_only
        .address_space:  global
        .offset:         48
        .size:           8
        .value_kind:     global_buffer
      - .offset:         56
        .size:           4
        .value_kind:     by_value
      - .actual_access:  read_only
        .address_space:  global
        .offset:         64
        .size:           8
        .value_kind:     global_buffer
      - .actual_access:  read_only
        .address_space:  global
        .offset:         72
        .size:           8
        .value_kind:     global_buffer
      - .address_space:  global
        .offset:         80
        .size:           8
        .value_kind:     global_buffer
    .group_segment_fixed_size: 0
    .kernarg_segment_align: 8
    .kernarg_segment_size: 88
    .language:       OpenCL C
    .language_version:
      - 2
      - 0
    .max_flat_workgroup_size: 100
    .name:           fft_rtc_back_len3000_factors_10_3_10_10_wgs_100_tpt_100_halfLds_half_ip_CI_unitstride_sbrr_R2C_dirReg
    .private_segment_fixed_size: 0
    .sgpr_count:     26
    .sgpr_spill_count: 0
    .symbol:         fft_rtc_back_len3000_factors_10_3_10_10_wgs_100_tpt_100_halfLds_half_ip_CI_unitstride_sbrr_R2C_dirReg.kd
    .uniform_work_group_size: 1
    .uses_dynamic_stack: false
    .vgpr_count:     127
    .vgpr_spill_count: 0
    .wavefront_size: 64
amdhsa.target:   amdgcn-amd-amdhsa--gfx906
amdhsa.version:
  - 1
  - 2
...

	.end_amdgpu_metadata
